;; amdgpu-corpus repo=ROCm/hipCUB kind=compiled arch=gfx90a opt=O3
	.text
	.amdgcn_target "amdgcn-amd-amdhsa--gfx90a"
	.amdhsa_code_object_version 6
	.section	.text._Z30block_run_length_decode_kernelI12hip_bfloat16iLj256ELj9ELj7EEvPKT_PKT0_PS1_,"axG",@progbits,_Z30block_run_length_decode_kernelI12hip_bfloat16iLj256ELj9ELj7EEvPKT_PKT0_PS1_,comdat
	.protected	_Z30block_run_length_decode_kernelI12hip_bfloat16iLj256ELj9ELj7EEvPKT_PKT0_PS1_ ; -- Begin function _Z30block_run_length_decode_kernelI12hip_bfloat16iLj256ELj9ELj7EEvPKT_PKT0_PS1_
	.globl	_Z30block_run_length_decode_kernelI12hip_bfloat16iLj256ELj9ELj7EEvPKT_PKT0_PS1_
	.p2align	8
	.type	_Z30block_run_length_decode_kernelI12hip_bfloat16iLj256ELj9ELj7EEvPKT_PKT0_PS1_,@function
_Z30block_run_length_decode_kernelI12hip_bfloat16iLj256ELj9ELj7EEvPKT_PKT0_PS1_: ; @_Z30block_run_length_decode_kernelI12hip_bfloat16iLj256ELj9ELj7EEvPKT_PKT0_PS1_
; %bb.0:
	s_load_dwordx4 s[0:3], s[4:5], 0x0
	v_lshl_or_b32 v14, s6, 8, v0
	v_lshl_add_u32 v2, v14, 3, v14
	v_mov_b32_e32 v3, 0
	v_lshlrev_b64 v[4:5], 2, v[2:3]
	s_waitcnt lgkmcnt(0)
	v_mov_b32_e32 v1, s3
	v_add_co_u32_e32 v4, vcc, s2, v4
	v_addc_co_u32_e32 v5, vcc, v1, v5, vcc
	global_load_dwordx4 v[10:13], v[4:5], off
	global_load_dwordx4 v[6:9], v[4:5], off offset:16
	global_load_dword v18, v[4:5], off offset:32
	v_lshlrev_b64 v[2:3], 1, v[2:3]
	v_mov_b32_e32 v1, s1
	v_add_co_u32_e32 v16, vcc, s0, v2
	v_addc_co_u32_e32 v17, vcc, v1, v3, vcc
	global_load_dwordx4 v[2:5], v[16:17], off
	global_load_ushort v1, v[16:17], off offset:16
	v_mbcnt_lo_u32_b32 v15, -1, 0
	v_mbcnt_hi_u32_b32 v15, -1, v15
	v_and_b32_e32 v17, 15, v15
	v_cmp_ne_u32_e32 vcc, 0, v17
	v_bfe_i32 v20, v15, 4, 1
	v_or_b32_e32 v19, 63, v0
	v_lshrrev_b32_e32 v16, 6, v0
	s_waitcnt vmcnt(4)
	v_add3_u32 v21, v11, v10, v12
	s_waitcnt vmcnt(3)
	v_add3_u32 v21, v21, v13, v6
	v_add3_u32 v21, v21, v7, v8
	s_waitcnt vmcnt(2)
	v_add3_u32 v18, v21, v9, v18
	s_nop 1
	v_mov_b32_dpp v21, v18 row_shr:1 row_mask:0xf bank_mask:0xf
	v_cndmask_b32_e32 v21, 0, v21, vcc
	v_add_u32_e32 v18, v21, v18
	v_cmp_lt_u32_e32 vcc, 1, v17
	s_nop 0
	v_mov_b32_dpp v21, v18 row_shr:2 row_mask:0xf bank_mask:0xf
	v_cndmask_b32_e32 v21, 0, v21, vcc
	v_add_u32_e32 v18, v18, v21
	v_cmp_lt_u32_e32 vcc, 3, v17
	;; [unrolled: 5-line block ×4, first 2 shown]
	s_nop 0
	v_mov_b32_dpp v18, v17 row_bcast:15 row_mask:0xf bank_mask:0xf
	v_and_b32_e32 v18, v20, v18
	v_add_u32_e32 v17, v17, v18
	s_nop 1
	v_mov_b32_dpp v18, v17 row_bcast:31 row_mask:0xf bank_mask:0xf
	v_cndmask_b32_e32 v18, 0, v18, vcc
	v_add_u32_e32 v17, v17, v18
	v_cmp_eq_u32_e32 vcc, v19, v0
	s_and_saveexec_b64 s[0:1], vcc
	s_cbranch_execz .LBB0_2
; %bb.1:
	v_lshlrev_b32_e32 v18, 2, v16
	ds_write_b32 v18, v17
.LBB0_2:
	s_or_b64 exec, exec, s[0:1]
	v_cmp_gt_u32_e32 vcc, 4, v0
	s_waitcnt lgkmcnt(0)
	s_barrier
	s_and_saveexec_b64 s[0:1], vcc
	s_cbranch_execz .LBB0_4
; %bb.3:
	v_lshlrev_b32_e32 v18, 2, v0
	ds_read_b32 v19, v18
	v_and_b32_e32 v20, 3, v15
	v_cmp_ne_u32_e32 vcc, 0, v20
	s_waitcnt lgkmcnt(0)
	v_mov_b32_dpp v21, v19 row_shr:1 row_mask:0xf bank_mask:0xf
	v_cndmask_b32_e32 v21, 0, v21, vcc
	v_add_u32_e32 v19, v21, v19
	v_cmp_lt_u32_e32 vcc, 1, v20
	s_nop 0
	v_mov_b32_dpp v21, v19 row_shr:2 row_mask:0xf bank_mask:0xf
	v_cndmask_b32_e32 v20, 0, v21, vcc
	v_add_u32_e32 v19, v19, v20
	ds_write_b32 v18, v19
.LBB0_4:
	s_or_b64 exec, exec, s[0:1]
	v_cmp_lt_u32_e32 vcc, 63, v0
	v_mov_b32_e32 v18, 0
	v_mov_b32_e32 v19, 0
	s_waitcnt lgkmcnt(0)
	s_barrier
	s_and_saveexec_b64 s[0:1], vcc
	s_cbranch_execz .LBB0_6
; %bb.5:
	v_lshl_add_u32 v16, v16, 2, -4
	ds_read_b32 v19, v16
.LBB0_6:
	s_or_b64 exec, exec, s[0:1]
	s_waitcnt lgkmcnt(0)
	v_add_u32_e32 v16, v19, v17
	v_add_u32_e32 v17, -1, v15
	v_and_b32_e32 v20, 64, v15
	v_cmp_lt_i32_e32 vcc, v17, v20
	v_cndmask_b32_e32 v17, v17, v15, vcc
	v_lshlrev_b32_e32 v17, 2, v17
	ds_bpermute_b32 v16, v17, v16
	v_cmp_eq_u32_e32 vcc, 0, v15
	v_mul_u32_u24_e32 v17, 9, v0
	s_mov_b32 s1, 0
	s_waitcnt lgkmcnt(0)
	v_cndmask_b32_e32 v15, v16, v19, vcc
	v_cmp_ne_u32_e32 vcc, 0, v0
	v_cndmask_b32_e32 v15, 0, v15, vcc
	v_add_u32_e32 v10, v15, v10
	ds_read_b32 v16, v18 offset:12
	v_add_u32_e32 v11, v10, v11
	v_add_u32_e32 v12, v11, v12
	;; [unrolled: 1-line block ×3, first 2 shown]
	v_lshlrev_b32_e32 v18, 1, v17
	v_lshlrev_b32_e32 v17, 2, v17
	v_add_u32_e32 v6, v13, v6
	v_add_u32_e32 v19, 0x1200, v17
	;; [unrolled: 1-line block ×3, first 2 shown]
	s_waitcnt lgkmcnt(0)
	s_barrier
	ds_write2_b32 v19, v15, v10 offset1:1
	ds_write_b32 v17, v11 offset:4616
	s_waitcnt vmcnt(1)
	ds_write_b64 v18, v[2:3]
	v_add_u32_e32 v2, 0x120c, v17
	v_cmp_eq_u32_e32 vcc, 0, v16
	v_add_u32_e32 v8, v7, v8
	v_readfirstlane_b32 s6, v16
	ds_write2_b32 v2, v12, v13 offset1:1
	v_add_u32_e32 v2, 0x1214, v17
	s_and_b64 vcc, exec, vcc
	v_add_u32_e32 v9, v8, v9
	ds_write2_b32 v2, v6, v7 offset1:1
	ds_write_b64 v18, v[4:5] offset:8
	ds_write_b32 v17, v8 offset:4636
	s_waitcnt vmcnt(0)
	ds_write_b16 v18, v1 offset:16
	ds_write_b32 v17, v9 offset:4640
	s_waitcnt lgkmcnt(0)
	s_barrier
	s_cbranch_vccnz .LBB0_59
; %bb.7:
	s_load_dwordx2 s[2:3], s[4:5], 0x10
	v_mov_b32_e32 v1, 0
	ds_read_b32 v5, v1 offset:9216
	v_mul_u32_u24_e32 v4, 7, v0
	v_mul_lo_u32 v0, v14, 7
	v_lshlrev_b64 v[2:3], 1, v[0:1]
	s_waitcnt lgkmcnt(0)
	v_mov_b32_e32 v6, s3
	v_add_co_u32_e32 v1, vcc, s2, v2
	v_addc_co_u32_e32 v6, vcc, v6, v3, vcc
	v_add_u32_e32 v7, 1, v0
	v_add_u32_e32 v8, 2, v0
	;; [unrolled: 1-line block ×6, first 2 shown]
	v_mov_b32_e32 v13, 0x481
	v_mov_b32_e32 v14, 0x900
	;; [unrolled: 1-line block ×5, first 2 shown]
	s_movk_i32 s7, 0x8ff
	s_mov_b32 s8, s6
	s_mov_b32 s0, s1
	s_branch .LBB0_9
.LBB0_8:                                ;   in Loop: Header=BB0_9 Depth=1
	s_or_b64 exec, exec, s[2:3]
	s_addk_i32 s0, 0x700
	s_addk_i32 s8, 0xf900
	s_cmp_lt_u32 s0, s6
	s_cbranch_scc0 .LBB0_59
.LBB0_9:                                ; =>This Inner Loop Header: Depth=1
	v_add_u32_e32 v2, s0, v4
	v_cmp_gt_u32_e32 vcc, v5, v2
	v_cndmask_b32_e32 v18, v16, v17, vcc
	v_lshlrev_b32_e32 v19, 2, v18
	ds_read_b32 v19, v19 offset:4608
	v_cndmask_b32_e64 v3, v13, 0, vcc
	v_cndmask_b32_e32 v20, v14, v15, vcc
	v_or_b32_e32 v21, 1, v18
	s_waitcnt lgkmcnt(0)
	v_cmp_gt_u32_e32 vcc, v19, v2
	v_cndmask_b32_e32 v3, v21, v3, vcc
	v_cndmask_b32_e32 v18, v20, v18, vcc
	v_sub_u32_e32 v19, v18, v3
	v_lshrrev_b16_e32 v20, 15, v19
	v_add_u16_e32 v19, v19, v20
	v_ashrrev_i16_e32 v19, 1, v19
	v_add_u32_sdwa v19, v3, sext(v19) dst_sel:DWORD dst_unused:UNUSED_PAD src0_sel:DWORD src1_sel:WORD_0
	v_min_i32_e32 v19, 0x8ff, v19
	v_lshlrev_b32_e32 v20, 2, v19
	ds_read_b32 v20, v20 offset:4608
	v_add_u32_e32 v21, 1, v19
	s_waitcnt lgkmcnt(0)
	v_cmp_gt_u32_e32 vcc, v20, v2
	v_cndmask_b32_e32 v3, v21, v3, vcc
	v_cndmask_b32_e32 v18, v18, v19, vcc
	v_sub_u32_e32 v19, v18, v3
	v_lshrrev_b16_e32 v20, 15, v19
	v_add_u16_e32 v19, v19, v20
	v_ashrrev_i16_e32 v19, 1, v19
	v_add_u32_sdwa v19, v3, sext(v19) dst_sel:DWORD dst_unused:UNUSED_PAD src0_sel:DWORD src1_sel:WORD_0
	v_min_i32_e32 v19, 0x8ff, v19
	v_lshlrev_b32_e32 v20, 2, v19
	ds_read_b32 v20, v20 offset:4608
	v_add_u32_e32 v21, 1, v19
	;; [unrolled: 13-line block ×7, first 2 shown]
	s_waitcnt lgkmcnt(0)
	v_cmp_gt_u32_e32 vcc, v20, v2
	v_cndmask_b32_e32 v3, v21, v3, vcc
	v_cndmask_b32_e32 v18, v18, v19, vcc
	v_sub_u32_e32 v19, v18, v3
	v_lshrrev_b32_e32 v20, 31, v19
	v_add_u32_e32 v19, v19, v20
	v_ashrrev_i32_e32 v19, 1, v19
	v_add_u32_e32 v19, v19, v3
	v_min_i32_e32 v19, 0x8ff, v19
	v_lshlrev_b32_e32 v20, 2, v19
	ds_read_b32 v20, v20 offset:4608
	v_add_u32_e32 v21, 1, v19
	s_waitcnt lgkmcnt(0)
	v_cmp_gt_u32_e32 vcc, v20, v2
	v_cndmask_b32_e32 v3, v21, v3, vcc
	v_cndmask_b32_e32 v18, v18, v19, vcc
	v_sub_u32_e32 v19, v18, v3
	v_lshrrev_b32_e32 v20, 31, v19
	v_add_u32_e32 v19, v19, v20
	v_ashrrev_i32_e32 v19, 1, v19
	v_add_u32_e32 v19, v19, v3
	v_min_i32_e32 v19, 0x8ff, v19
	v_lshlrev_b32_e32 v20, 2, v19
	ds_read_b32 v20, v20 offset:4608
	v_add_u32_e32 v21, 1, v19
	;; [unrolled: 13-line block ×4, first 2 shown]
	s_waitcnt lgkmcnt(0)
	v_cmp_gt_u32_e32 vcc, v19, v2
	v_cndmask_b32_e32 v20, v18, v3, vcc
	v_add_u32_e32 v3, -1, v20
	v_cmp_ne_u32_e32 vcc, s7, v3
                                        ; implicit-def: $vgpr19
	s_and_saveexec_b64 s[2:3], vcc
	s_xor_b64 s[2:3], exec, s[2:3]
	s_cbranch_execz .LBB0_11
; %bb.10:                               ;   in Loop: Header=BB0_9 Depth=1
	v_lshlrev_b32_e32 v18, 2, v20
	ds_read_b32 v19, v18 offset:4608
.LBB0_11:                               ;   in Loop: Header=BB0_9 Depth=1
	s_andn2_saveexec_b64 s[2:3], s[2:3]
	s_cbranch_execz .LBB0_13
; %bb.12:                               ;   in Loop: Header=BB0_9 Depth=1
	s_waitcnt lgkmcnt(0)
	v_add_u32_e32 v19, 7, v2
.LBB0_13:                               ;   in Loop: Header=BB0_9 Depth=1
	s_or_b64 exec, exec, s[2:3]
	v_lshlrev_b32_e32 v18, 1, v3
	ds_read_u16 v18, v18
	s_waitcnt lgkmcnt(1)
	v_add_u32_e32 v23, -1, v19
	v_cmp_eq_u32_e32 vcc, v2, v23
	s_waitcnt lgkmcnt(0)
	v_mov_b32_e32 v19, v18
	s_and_saveexec_b64 s[2:3], vcc
	s_cbranch_execz .LBB0_19
; %bb.14:                               ;   in Loop: Header=BB0_9 Depth=1
	v_cmp_ne_u32_e32 vcc, s7, v20
                                        ; implicit-def: $vgpr3
	s_and_saveexec_b64 s[4:5], vcc
	s_xor_b64 s[4:5], exec, s[4:5]
	s_cbranch_execz .LBB0_16
; %bb.15:                               ;   in Loop: Header=BB0_9 Depth=1
	v_lshlrev_b32_e32 v3, 2, v20
	ds_read_b32 v3, v3 offset:4612
.LBB0_16:                               ;   in Loop: Header=BB0_9 Depth=1
	s_andn2_saveexec_b64 s[4:5], s[4:5]
	s_cbranch_execz .LBB0_18
; %bb.17:                               ;   in Loop: Header=BB0_9 Depth=1
	s_waitcnt lgkmcnt(0)
	v_add_u32_e32 v3, 7, v2
.LBB0_18:                               ;   in Loop: Header=BB0_9 Depth=1
	s_or_b64 exec, exec, s[4:5]
	v_lshlrev_b32_e32 v19, 1, v20
	ds_read_u16 v19, v19
	s_waitcnt lgkmcnt(1)
	v_add_u32_e32 v23, -1, v3
	v_mov_b32_e32 v3, v20
.LBB0_19:                               ;   in Loop: Header=BB0_9 Depth=1
	s_or_b64 exec, exec, s[2:3]
	v_add_u32_e32 v20, 1, v2
	v_cmp_eq_u32_e32 vcc, v20, v23
	s_waitcnt lgkmcnt(0)
	v_mov_b32_e32 v20, v19
	s_and_saveexec_b64 s[2:3], vcc
	s_cbranch_execz .LBB0_25
; %bb.20:                               ;   in Loop: Header=BB0_9 Depth=1
	v_add_u32_e32 v21, 1, v3
	v_cmp_ne_u32_e32 vcc, s7, v21
                                        ; implicit-def: $vgpr22
	s_and_saveexec_b64 s[4:5], vcc
	s_xor_b64 s[4:5], exec, s[4:5]
	s_cbranch_execz .LBB0_22
; %bb.21:                               ;   in Loop: Header=BB0_9 Depth=1
	v_lshlrev_b32_e32 v3, 2, v3
	ds_read_b32 v22, v3 offset:4616
.LBB0_22:                               ;   in Loop: Header=BB0_9 Depth=1
	s_andn2_saveexec_b64 s[4:5], s[4:5]
	s_cbranch_execz .LBB0_24
; %bb.23:                               ;   in Loop: Header=BB0_9 Depth=1
	s_waitcnt lgkmcnt(0)
	v_add_u32_e32 v22, 8, v2
.LBB0_24:                               ;   in Loop: Header=BB0_9 Depth=1
	s_or_b64 exec, exec, s[4:5]
	v_lshlrev_b32_e32 v3, 1, v21
	ds_read_u16 v20, v3
	s_waitcnt lgkmcnt(1)
	v_add_u32_e32 v23, -1, v22
	v_mov_b32_e32 v3, v21
.LBB0_25:                               ;   in Loop: Header=BB0_9 Depth=1
	s_or_b64 exec, exec, s[2:3]
	v_add_u32_e32 v21, 2, v2
	v_cmp_eq_u32_e32 vcc, v21, v23
	s_waitcnt lgkmcnt(0)
	v_mov_b32_e32 v21, v20
	s_and_saveexec_b64 s[2:3], vcc
	s_cbranch_execz .LBB0_31
; %bb.26:                               ;   in Loop: Header=BB0_9 Depth=1
	v_add_u32_e32 v22, 1, v3
	v_cmp_ne_u32_e32 vcc, s7, v22
                                        ; implicit-def: $vgpr23
	s_and_saveexec_b64 s[4:5], vcc
	s_xor_b64 s[4:5], exec, s[4:5]
	s_cbranch_execz .LBB0_28
; %bb.27:                               ;   in Loop: Header=BB0_9 Depth=1
	v_lshlrev_b32_e32 v3, 2, v3
	ds_read_b32 v23, v3 offset:4616
.LBB0_28:                               ;   in Loop: Header=BB0_9 Depth=1
	s_andn2_saveexec_b64 s[4:5], s[4:5]
	s_cbranch_execz .LBB0_30
; %bb.29:                               ;   in Loop: Header=BB0_9 Depth=1
	s_waitcnt lgkmcnt(0)
	v_add_u32_e32 v23, 9, v2
.LBB0_30:                               ;   in Loop: Header=BB0_9 Depth=1
	s_or_b64 exec, exec, s[4:5]
	v_lshlrev_b32_e32 v3, 1, v22
	ds_read_u16 v21, v3
	s_waitcnt lgkmcnt(1)
	v_add_u32_e32 v23, -1, v23
	v_mov_b32_e32 v3, v22
.LBB0_31:                               ;   in Loop: Header=BB0_9 Depth=1
	s_or_b64 exec, exec, s[2:3]
	v_add_u32_e32 v22, 3, v2
	v_cmp_eq_u32_e32 vcc, v22, v23
	s_waitcnt lgkmcnt(0)
	v_mov_b32_e32 v22, v21
	s_and_saveexec_b64 s[2:3], vcc
	s_cbranch_execz .LBB0_37
; %bb.32:                               ;   in Loop: Header=BB0_9 Depth=1
	v_add_u32_e32 v24, 1, v3
	v_cmp_ne_u32_e32 vcc, s7, v24
                                        ; implicit-def: $vgpr23
	s_and_saveexec_b64 s[4:5], vcc
	s_xor_b64 s[4:5], exec, s[4:5]
	s_cbranch_execz .LBB0_34
; %bb.33:                               ;   in Loop: Header=BB0_9 Depth=1
	v_lshlrev_b32_e32 v3, 2, v3
	ds_read_b32 v23, v3 offset:4616
.LBB0_34:                               ;   in Loop: Header=BB0_9 Depth=1
	s_andn2_saveexec_b64 s[4:5], s[4:5]
	s_cbranch_execz .LBB0_36
; %bb.35:                               ;   in Loop: Header=BB0_9 Depth=1
	s_waitcnt lgkmcnt(0)
	v_add_u32_e32 v23, 10, v2
.LBB0_36:                               ;   in Loop: Header=BB0_9 Depth=1
	s_or_b64 exec, exec, s[4:5]
	v_lshlrev_b32_e32 v3, 1, v24
	ds_read_u16 v22, v3
	s_waitcnt lgkmcnt(1)
	v_add_u32_e32 v23, -1, v23
	v_mov_b32_e32 v3, v24
.LBB0_37:                               ;   in Loop: Header=BB0_9 Depth=1
	;; [unrolled: 31-line block ×3, first 2 shown]
	s_or_b64 exec, exec, s[2:3]
	v_add_u32_e32 v2, 5, v2
	v_cmp_eq_u32_e32 vcc, v2, v23
	s_waitcnt lgkmcnt(0)
	v_mov_b32_e32 v23, v24
	s_and_saveexec_b64 s[2:3], vcc
	s_cbranch_execz .LBB0_45
; %bb.44:                               ;   in Loop: Header=BB0_9 Depth=1
	v_lshlrev_b32_e32 v2, 1, v3
	ds_read_u16 v23, v2 offset:2
.LBB0_45:                               ;   in Loop: Header=BB0_9 Depth=1
	s_or_b64 exec, exec, s[2:3]
	s_lshl_b64 s[2:3], s[0:1], 1
	v_mov_b32_e32 v3, s3
	v_add_co_u32_e32 v2, vcc, s2, v1
	s_min_u32 s4, s8, 0x700
	v_addc_co_u32_e32 v3, vcc, v6, v3, vcc
	v_cmp_gt_u32_e32 vcc, s4, v0
	s_and_saveexec_b64 s[2:3], vcc
	s_cbranch_execnz .LBB0_52
; %bb.46:                               ;   in Loop: Header=BB0_9 Depth=1
	s_or_b64 exec, exec, s[2:3]
	v_cmp_gt_u32_e32 vcc, s4, v7
	s_and_saveexec_b64 s[2:3], vcc
	s_cbranch_execnz .LBB0_53
.LBB0_47:                               ;   in Loop: Header=BB0_9 Depth=1
	s_or_b64 exec, exec, s[2:3]
	v_cmp_gt_u32_e32 vcc, s4, v8
	s_and_saveexec_b64 s[2:3], vcc
	s_cbranch_execnz .LBB0_54
.LBB0_48:                               ;   in Loop: Header=BB0_9 Depth=1
	s_or_b64 exec, exec, s[2:3]
	v_cmp_gt_u32_e32 vcc, s4, v9
	s_and_saveexec_b64 s[2:3], vcc
	s_cbranch_execnz .LBB0_55
.LBB0_49:                               ;   in Loop: Header=BB0_9 Depth=1
	s_or_b64 exec, exec, s[2:3]
	v_cmp_gt_u32_e32 vcc, s4, v10
	s_and_saveexec_b64 s[2:3], vcc
	s_cbranch_execnz .LBB0_56
.LBB0_50:                               ;   in Loop: Header=BB0_9 Depth=1
	s_or_b64 exec, exec, s[2:3]
	v_cmp_gt_u32_e32 vcc, s4, v11
	s_and_saveexec_b64 s[2:3], vcc
	s_cbranch_execnz .LBB0_57
.LBB0_51:                               ;   in Loop: Header=BB0_9 Depth=1
	s_or_b64 exec, exec, s[2:3]
	v_cmp_gt_u32_e32 vcc, s4, v12
	s_and_saveexec_b64 s[2:3], vcc
	s_cbranch_execz .LBB0_8
	s_branch .LBB0_58
.LBB0_52:                               ;   in Loop: Header=BB0_9 Depth=1
	global_store_short v[2:3], v18, off
	s_or_b64 exec, exec, s[2:3]
	v_cmp_gt_u32_e32 vcc, s4, v7
	s_and_saveexec_b64 s[2:3], vcc
	s_cbranch_execz .LBB0_47
.LBB0_53:                               ;   in Loop: Header=BB0_9 Depth=1
	global_store_short v[2:3], v19, off offset:2
	s_or_b64 exec, exec, s[2:3]
	v_cmp_gt_u32_e32 vcc, s4, v8
	s_and_saveexec_b64 s[2:3], vcc
	s_cbranch_execz .LBB0_48
.LBB0_54:                               ;   in Loop: Header=BB0_9 Depth=1
	global_store_short v[2:3], v20, off offset:4
	s_or_b64 exec, exec, s[2:3]
	v_cmp_gt_u32_e32 vcc, s4, v9
	s_and_saveexec_b64 s[2:3], vcc
	s_cbranch_execz .LBB0_49
.LBB0_55:                               ;   in Loop: Header=BB0_9 Depth=1
	global_store_short v[2:3], v21, off offset:6
	s_or_b64 exec, exec, s[2:3]
	v_cmp_gt_u32_e32 vcc, s4, v10
	s_and_saveexec_b64 s[2:3], vcc
	s_cbranch_execz .LBB0_50
.LBB0_56:                               ;   in Loop: Header=BB0_9 Depth=1
	global_store_short v[2:3], v22, off offset:8
	s_or_b64 exec, exec, s[2:3]
	v_cmp_gt_u32_e32 vcc, s4, v11
	s_and_saveexec_b64 s[2:3], vcc
	s_cbranch_execz .LBB0_51
.LBB0_57:                               ;   in Loop: Header=BB0_9 Depth=1
	global_store_short v[2:3], v24, off offset:10
	s_or_b64 exec, exec, s[2:3]
	v_cmp_gt_u32_e32 vcc, s4, v12
	s_and_saveexec_b64 s[2:3], vcc
	s_cbranch_execz .LBB0_8
.LBB0_58:                               ;   in Loop: Header=BB0_9 Depth=1
	s_waitcnt lgkmcnt(0)
	global_store_short v[2:3], v23, off offset:12
	s_branch .LBB0_8
.LBB0_59:
	s_endpgm
	.section	.rodata,"a",@progbits
	.p2align	6, 0x0
	.amdhsa_kernel _Z30block_run_length_decode_kernelI12hip_bfloat16iLj256ELj9ELj7EEvPKT_PKT0_PS1_
		.amdhsa_group_segment_fixed_size 13824
		.amdhsa_private_segment_fixed_size 0
		.amdhsa_kernarg_size 24
		.amdhsa_user_sgpr_count 6
		.amdhsa_user_sgpr_private_segment_buffer 1
		.amdhsa_user_sgpr_dispatch_ptr 0
		.amdhsa_user_sgpr_queue_ptr 0
		.amdhsa_user_sgpr_kernarg_segment_ptr 1
		.amdhsa_user_sgpr_dispatch_id 0
		.amdhsa_user_sgpr_flat_scratch_init 0
		.amdhsa_user_sgpr_kernarg_preload_length 0
		.amdhsa_user_sgpr_kernarg_preload_offset 0
		.amdhsa_user_sgpr_private_segment_size 0
		.amdhsa_uses_dynamic_stack 0
		.amdhsa_system_sgpr_private_segment_wavefront_offset 0
		.amdhsa_system_sgpr_workgroup_id_x 1
		.amdhsa_system_sgpr_workgroup_id_y 0
		.amdhsa_system_sgpr_workgroup_id_z 0
		.amdhsa_system_sgpr_workgroup_info 0
		.amdhsa_system_vgpr_workitem_id 0
		.amdhsa_next_free_vgpr 26
		.amdhsa_next_free_sgpr 9
		.amdhsa_accum_offset 28
		.amdhsa_reserve_vcc 1
		.amdhsa_reserve_flat_scratch 0
		.amdhsa_float_round_mode_32 0
		.amdhsa_float_round_mode_16_64 0
		.amdhsa_float_denorm_mode_32 3
		.amdhsa_float_denorm_mode_16_64 3
		.amdhsa_dx10_clamp 1
		.amdhsa_ieee_mode 1
		.amdhsa_fp16_overflow 0
		.amdhsa_tg_split 0
		.amdhsa_exception_fp_ieee_invalid_op 0
		.amdhsa_exception_fp_denorm_src 0
		.amdhsa_exception_fp_ieee_div_zero 0
		.amdhsa_exception_fp_ieee_overflow 0
		.amdhsa_exception_fp_ieee_underflow 0
		.amdhsa_exception_fp_ieee_inexact 0
		.amdhsa_exception_int_div_zero 0
	.end_amdhsa_kernel
	.section	.text._Z30block_run_length_decode_kernelI12hip_bfloat16iLj256ELj9ELj7EEvPKT_PKT0_PS1_,"axG",@progbits,_Z30block_run_length_decode_kernelI12hip_bfloat16iLj256ELj9ELj7EEvPKT_PKT0_PS1_,comdat
.Lfunc_end0:
	.size	_Z30block_run_length_decode_kernelI12hip_bfloat16iLj256ELj9ELj7EEvPKT_PKT0_PS1_, .Lfunc_end0-_Z30block_run_length_decode_kernelI12hip_bfloat16iLj256ELj9ELj7EEvPKT_PKT0_PS1_
                                        ; -- End function
	.section	.AMDGPU.csdata,"",@progbits
; Kernel info:
; codeLenInByte = 2572
; NumSgprs: 13
; NumVgprs: 26
; NumAgprs: 0
; TotalNumVgprs: 26
; ScratchSize: 0
; MemoryBound: 0
; FloatMode: 240
; IeeeMode: 1
; LDSByteSize: 13824 bytes/workgroup (compile time only)
; SGPRBlocks: 1
; VGPRBlocks: 3
; NumSGPRsForWavesPerEU: 13
; NumVGPRsForWavesPerEU: 26
; AccumOffset: 28
; Occupancy: 4
; WaveLimiterHint : 0
; COMPUTE_PGM_RSRC2:SCRATCH_EN: 0
; COMPUTE_PGM_RSRC2:USER_SGPR: 6
; COMPUTE_PGM_RSRC2:TRAP_HANDLER: 0
; COMPUTE_PGM_RSRC2:TGID_X_EN: 1
; COMPUTE_PGM_RSRC2:TGID_Y_EN: 0
; COMPUTE_PGM_RSRC2:TGID_Z_EN: 0
; COMPUTE_PGM_RSRC2:TIDIG_COMP_CNT: 0
; COMPUTE_PGM_RSRC3_GFX90A:ACCUM_OFFSET: 6
; COMPUTE_PGM_RSRC3_GFX90A:TG_SPLIT: 0
	.section	.text._Z30block_run_length_decode_kernelI6__halfiLj256ELj9ELj7EEvPKT_PKT0_PS1_,"axG",@progbits,_Z30block_run_length_decode_kernelI6__halfiLj256ELj9ELj7EEvPKT_PKT0_PS1_,comdat
	.protected	_Z30block_run_length_decode_kernelI6__halfiLj256ELj9ELj7EEvPKT_PKT0_PS1_ ; -- Begin function _Z30block_run_length_decode_kernelI6__halfiLj256ELj9ELj7EEvPKT_PKT0_PS1_
	.globl	_Z30block_run_length_decode_kernelI6__halfiLj256ELj9ELj7EEvPKT_PKT0_PS1_
	.p2align	8
	.type	_Z30block_run_length_decode_kernelI6__halfiLj256ELj9ELj7EEvPKT_PKT0_PS1_,@function
_Z30block_run_length_decode_kernelI6__halfiLj256ELj9ELj7EEvPKT_PKT0_PS1_: ; @_Z30block_run_length_decode_kernelI6__halfiLj256ELj9ELj7EEvPKT_PKT0_PS1_
; %bb.0:
	s_load_dwordx4 s[0:3], s[4:5], 0x0
	v_lshl_or_b32 v14, s6, 8, v0
	v_lshl_add_u32 v2, v14, 3, v14
	v_mov_b32_e32 v3, 0
	v_lshlrev_b64 v[4:5], 2, v[2:3]
	s_waitcnt lgkmcnt(0)
	v_mov_b32_e32 v1, s3
	v_add_co_u32_e32 v4, vcc, s2, v4
	v_addc_co_u32_e32 v5, vcc, v1, v5, vcc
	global_load_dwordx4 v[10:13], v[4:5], off
	global_load_dwordx4 v[6:9], v[4:5], off offset:16
	global_load_dword v18, v[4:5], off offset:32
	v_lshlrev_b64 v[2:3], 1, v[2:3]
	v_mov_b32_e32 v1, s1
	v_add_co_u32_e32 v16, vcc, s0, v2
	v_addc_co_u32_e32 v17, vcc, v1, v3, vcc
	global_load_dwordx4 v[2:5], v[16:17], off
	global_load_ushort v1, v[16:17], off offset:16
	v_mbcnt_lo_u32_b32 v15, -1, 0
	v_mbcnt_hi_u32_b32 v15, -1, v15
	v_and_b32_e32 v17, 15, v15
	v_cmp_ne_u32_e32 vcc, 0, v17
	v_bfe_i32 v20, v15, 4, 1
	v_or_b32_e32 v19, 63, v0
	v_lshrrev_b32_e32 v16, 6, v0
	s_waitcnt vmcnt(4)
	v_add3_u32 v21, v11, v10, v12
	s_waitcnt vmcnt(3)
	v_add3_u32 v21, v21, v13, v6
	v_add3_u32 v21, v21, v7, v8
	s_waitcnt vmcnt(2)
	v_add3_u32 v18, v21, v9, v18
	s_nop 1
	v_mov_b32_dpp v21, v18 row_shr:1 row_mask:0xf bank_mask:0xf
	v_cndmask_b32_e32 v21, 0, v21, vcc
	v_add_u32_e32 v18, v21, v18
	v_cmp_lt_u32_e32 vcc, 1, v17
	s_nop 0
	v_mov_b32_dpp v21, v18 row_shr:2 row_mask:0xf bank_mask:0xf
	v_cndmask_b32_e32 v21, 0, v21, vcc
	v_add_u32_e32 v18, v18, v21
	v_cmp_lt_u32_e32 vcc, 3, v17
	;; [unrolled: 5-line block ×4, first 2 shown]
	s_nop 0
	v_mov_b32_dpp v18, v17 row_bcast:15 row_mask:0xf bank_mask:0xf
	v_and_b32_e32 v18, v20, v18
	v_add_u32_e32 v17, v17, v18
	s_nop 1
	v_mov_b32_dpp v18, v17 row_bcast:31 row_mask:0xf bank_mask:0xf
	v_cndmask_b32_e32 v18, 0, v18, vcc
	v_add_u32_e32 v17, v17, v18
	v_cmp_eq_u32_e32 vcc, v19, v0
	s_and_saveexec_b64 s[0:1], vcc
	s_cbranch_execz .LBB1_2
; %bb.1:
	v_lshlrev_b32_e32 v18, 2, v16
	ds_write_b32 v18, v17
.LBB1_2:
	s_or_b64 exec, exec, s[0:1]
	v_cmp_gt_u32_e32 vcc, 4, v0
	s_waitcnt lgkmcnt(0)
	s_barrier
	s_and_saveexec_b64 s[0:1], vcc
	s_cbranch_execz .LBB1_4
; %bb.3:
	v_lshlrev_b32_e32 v18, 2, v0
	ds_read_b32 v19, v18
	v_and_b32_e32 v20, 3, v15
	v_cmp_ne_u32_e32 vcc, 0, v20
	s_waitcnt lgkmcnt(0)
	v_mov_b32_dpp v21, v19 row_shr:1 row_mask:0xf bank_mask:0xf
	v_cndmask_b32_e32 v21, 0, v21, vcc
	v_add_u32_e32 v19, v21, v19
	v_cmp_lt_u32_e32 vcc, 1, v20
	s_nop 0
	v_mov_b32_dpp v21, v19 row_shr:2 row_mask:0xf bank_mask:0xf
	v_cndmask_b32_e32 v20, 0, v21, vcc
	v_add_u32_e32 v19, v19, v20
	ds_write_b32 v18, v19
.LBB1_4:
	s_or_b64 exec, exec, s[0:1]
	v_cmp_lt_u32_e32 vcc, 63, v0
	v_mov_b32_e32 v18, 0
	v_mov_b32_e32 v19, 0
	s_waitcnt lgkmcnt(0)
	s_barrier
	s_and_saveexec_b64 s[0:1], vcc
	s_cbranch_execz .LBB1_6
; %bb.5:
	v_lshl_add_u32 v16, v16, 2, -4
	ds_read_b32 v19, v16
.LBB1_6:
	s_or_b64 exec, exec, s[0:1]
	s_waitcnt lgkmcnt(0)
	v_add_u32_e32 v16, v19, v17
	v_add_u32_e32 v17, -1, v15
	v_and_b32_e32 v20, 64, v15
	v_cmp_lt_i32_e32 vcc, v17, v20
	v_cndmask_b32_e32 v17, v17, v15, vcc
	v_lshlrev_b32_e32 v17, 2, v17
	ds_bpermute_b32 v16, v17, v16
	v_cmp_eq_u32_e32 vcc, 0, v15
	v_mul_u32_u24_e32 v17, 9, v0
	s_mov_b32 s1, 0
	s_waitcnt lgkmcnt(0)
	v_cndmask_b32_e32 v15, v16, v19, vcc
	v_cmp_ne_u32_e32 vcc, 0, v0
	v_cndmask_b32_e32 v15, 0, v15, vcc
	v_add_u32_e32 v10, v15, v10
	ds_read_b32 v16, v18 offset:12
	v_add_u32_e32 v11, v10, v11
	v_add_u32_e32 v12, v11, v12
	;; [unrolled: 1-line block ×3, first 2 shown]
	v_lshlrev_b32_e32 v18, 1, v17
	v_lshlrev_b32_e32 v17, 2, v17
	v_add_u32_e32 v6, v13, v6
	v_add_u32_e32 v19, 0x1200, v17
	;; [unrolled: 1-line block ×3, first 2 shown]
	s_waitcnt lgkmcnt(0)
	s_barrier
	ds_write2_b32 v19, v15, v10 offset1:1
	ds_write_b32 v17, v11 offset:4616
	s_waitcnt vmcnt(1)
	ds_write_b64 v18, v[2:3]
	v_add_u32_e32 v2, 0x120c, v17
	v_cmp_eq_u32_e32 vcc, 0, v16
	v_add_u32_e32 v8, v7, v8
	v_readfirstlane_b32 s6, v16
	ds_write2_b32 v2, v12, v13 offset1:1
	v_add_u32_e32 v2, 0x1214, v17
	s_and_b64 vcc, exec, vcc
	v_add_u32_e32 v9, v8, v9
	ds_write2_b32 v2, v6, v7 offset1:1
	ds_write_b64 v18, v[4:5] offset:8
	ds_write_b32 v17, v8 offset:4636
	s_waitcnt vmcnt(0)
	ds_write_b16 v18, v1 offset:16
	ds_write_b32 v17, v9 offset:4640
	s_waitcnt lgkmcnt(0)
	s_barrier
	s_cbranch_vccnz .LBB1_59
; %bb.7:
	s_load_dwordx2 s[2:3], s[4:5], 0x10
	v_mov_b32_e32 v1, 0
	ds_read_b32 v5, v1 offset:9216
	v_mul_u32_u24_e32 v4, 7, v0
	v_mul_lo_u32 v0, v14, 7
	v_lshlrev_b64 v[2:3], 1, v[0:1]
	s_waitcnt lgkmcnt(0)
	v_mov_b32_e32 v6, s3
	v_add_co_u32_e32 v1, vcc, s2, v2
	v_addc_co_u32_e32 v6, vcc, v6, v3, vcc
	v_add_u32_e32 v7, 1, v0
	v_add_u32_e32 v8, 2, v0
	;; [unrolled: 1-line block ×6, first 2 shown]
	v_mov_b32_e32 v13, 0x481
	v_mov_b32_e32 v14, 0x900
	;; [unrolled: 1-line block ×5, first 2 shown]
	s_movk_i32 s7, 0x8ff
	s_mov_b32 s8, s6
	s_mov_b32 s0, s1
	s_branch .LBB1_9
.LBB1_8:                                ;   in Loop: Header=BB1_9 Depth=1
	s_or_b64 exec, exec, s[2:3]
	s_addk_i32 s0, 0x700
	s_addk_i32 s8, 0xf900
	s_cmp_lt_u32 s0, s6
	s_cbranch_scc0 .LBB1_59
.LBB1_9:                                ; =>This Inner Loop Header: Depth=1
	v_add_u32_e32 v2, s0, v4
	v_cmp_gt_u32_e32 vcc, v5, v2
	v_cndmask_b32_e32 v18, v16, v17, vcc
	v_lshlrev_b32_e32 v19, 2, v18
	ds_read_b32 v19, v19 offset:4608
	v_cndmask_b32_e64 v3, v13, 0, vcc
	v_cndmask_b32_e32 v20, v14, v15, vcc
	v_or_b32_e32 v21, 1, v18
	s_waitcnt lgkmcnt(0)
	v_cmp_gt_u32_e32 vcc, v19, v2
	v_cndmask_b32_e32 v3, v21, v3, vcc
	v_cndmask_b32_e32 v18, v20, v18, vcc
	v_sub_u32_e32 v19, v18, v3
	v_lshrrev_b16_e32 v20, 15, v19
	v_add_u16_e32 v19, v19, v20
	v_ashrrev_i16_e32 v19, 1, v19
	v_add_u32_sdwa v19, v3, sext(v19) dst_sel:DWORD dst_unused:UNUSED_PAD src0_sel:DWORD src1_sel:WORD_0
	v_min_i32_e32 v19, 0x8ff, v19
	v_lshlrev_b32_e32 v20, 2, v19
	ds_read_b32 v20, v20 offset:4608
	v_add_u32_e32 v21, 1, v19
	s_waitcnt lgkmcnt(0)
	v_cmp_gt_u32_e32 vcc, v20, v2
	v_cndmask_b32_e32 v3, v21, v3, vcc
	v_cndmask_b32_e32 v18, v18, v19, vcc
	v_sub_u32_e32 v19, v18, v3
	v_lshrrev_b16_e32 v20, 15, v19
	v_add_u16_e32 v19, v19, v20
	v_ashrrev_i16_e32 v19, 1, v19
	v_add_u32_sdwa v19, v3, sext(v19) dst_sel:DWORD dst_unused:UNUSED_PAD src0_sel:DWORD src1_sel:WORD_0
	v_min_i32_e32 v19, 0x8ff, v19
	v_lshlrev_b32_e32 v20, 2, v19
	ds_read_b32 v20, v20 offset:4608
	v_add_u32_e32 v21, 1, v19
	;; [unrolled: 13-line block ×7, first 2 shown]
	s_waitcnt lgkmcnt(0)
	v_cmp_gt_u32_e32 vcc, v20, v2
	v_cndmask_b32_e32 v3, v21, v3, vcc
	v_cndmask_b32_e32 v18, v18, v19, vcc
	v_sub_u32_e32 v19, v18, v3
	v_lshrrev_b32_e32 v20, 31, v19
	v_add_u32_e32 v19, v19, v20
	v_ashrrev_i32_e32 v19, 1, v19
	v_add_u32_e32 v19, v19, v3
	v_min_i32_e32 v19, 0x8ff, v19
	v_lshlrev_b32_e32 v20, 2, v19
	ds_read_b32 v20, v20 offset:4608
	v_add_u32_e32 v21, 1, v19
	s_waitcnt lgkmcnt(0)
	v_cmp_gt_u32_e32 vcc, v20, v2
	v_cndmask_b32_e32 v3, v21, v3, vcc
	v_cndmask_b32_e32 v18, v18, v19, vcc
	v_sub_u32_e32 v19, v18, v3
	v_lshrrev_b32_e32 v20, 31, v19
	v_add_u32_e32 v19, v19, v20
	v_ashrrev_i32_e32 v19, 1, v19
	v_add_u32_e32 v19, v19, v3
	v_min_i32_e32 v19, 0x8ff, v19
	v_lshlrev_b32_e32 v20, 2, v19
	ds_read_b32 v20, v20 offset:4608
	v_add_u32_e32 v21, 1, v19
	;; [unrolled: 13-line block ×4, first 2 shown]
	s_waitcnt lgkmcnt(0)
	v_cmp_gt_u32_e32 vcc, v19, v2
	v_cndmask_b32_e32 v20, v18, v3, vcc
	v_add_u32_e32 v3, -1, v20
	v_cmp_ne_u32_e32 vcc, s7, v3
                                        ; implicit-def: $vgpr19
	s_and_saveexec_b64 s[2:3], vcc
	s_xor_b64 s[2:3], exec, s[2:3]
	s_cbranch_execz .LBB1_11
; %bb.10:                               ;   in Loop: Header=BB1_9 Depth=1
	v_lshlrev_b32_e32 v18, 2, v20
	ds_read_b32 v19, v18 offset:4608
.LBB1_11:                               ;   in Loop: Header=BB1_9 Depth=1
	s_andn2_saveexec_b64 s[2:3], s[2:3]
	s_cbranch_execz .LBB1_13
; %bb.12:                               ;   in Loop: Header=BB1_9 Depth=1
	s_waitcnt lgkmcnt(0)
	v_add_u32_e32 v19, 7, v2
.LBB1_13:                               ;   in Loop: Header=BB1_9 Depth=1
	s_or_b64 exec, exec, s[2:3]
	v_lshlrev_b32_e32 v18, 1, v3
	ds_read_u16 v18, v18
	s_waitcnt lgkmcnt(1)
	v_add_u32_e32 v23, -1, v19
	v_cmp_eq_u32_e32 vcc, v2, v23
	s_waitcnt lgkmcnt(0)
	v_mov_b32_e32 v19, v18
	s_and_saveexec_b64 s[2:3], vcc
	s_cbranch_execz .LBB1_19
; %bb.14:                               ;   in Loop: Header=BB1_9 Depth=1
	v_cmp_ne_u32_e32 vcc, s7, v20
                                        ; implicit-def: $vgpr3
	s_and_saveexec_b64 s[4:5], vcc
	s_xor_b64 s[4:5], exec, s[4:5]
	s_cbranch_execz .LBB1_16
; %bb.15:                               ;   in Loop: Header=BB1_9 Depth=1
	v_lshlrev_b32_e32 v3, 2, v20
	ds_read_b32 v3, v3 offset:4612
.LBB1_16:                               ;   in Loop: Header=BB1_9 Depth=1
	s_andn2_saveexec_b64 s[4:5], s[4:5]
	s_cbranch_execz .LBB1_18
; %bb.17:                               ;   in Loop: Header=BB1_9 Depth=1
	s_waitcnt lgkmcnt(0)
	v_add_u32_e32 v3, 7, v2
.LBB1_18:                               ;   in Loop: Header=BB1_9 Depth=1
	s_or_b64 exec, exec, s[4:5]
	v_lshlrev_b32_e32 v19, 1, v20
	ds_read_u16 v19, v19
	s_waitcnt lgkmcnt(1)
	v_add_u32_e32 v23, -1, v3
	v_mov_b32_e32 v3, v20
.LBB1_19:                               ;   in Loop: Header=BB1_9 Depth=1
	s_or_b64 exec, exec, s[2:3]
	v_add_u32_e32 v20, 1, v2
	v_cmp_eq_u32_e32 vcc, v20, v23
	s_waitcnt lgkmcnt(0)
	v_mov_b32_e32 v20, v19
	s_and_saveexec_b64 s[2:3], vcc
	s_cbranch_execz .LBB1_25
; %bb.20:                               ;   in Loop: Header=BB1_9 Depth=1
	v_add_u32_e32 v21, 1, v3
	v_cmp_ne_u32_e32 vcc, s7, v21
                                        ; implicit-def: $vgpr22
	s_and_saveexec_b64 s[4:5], vcc
	s_xor_b64 s[4:5], exec, s[4:5]
	s_cbranch_execz .LBB1_22
; %bb.21:                               ;   in Loop: Header=BB1_9 Depth=1
	v_lshlrev_b32_e32 v3, 2, v3
	ds_read_b32 v22, v3 offset:4616
.LBB1_22:                               ;   in Loop: Header=BB1_9 Depth=1
	s_andn2_saveexec_b64 s[4:5], s[4:5]
	s_cbranch_execz .LBB1_24
; %bb.23:                               ;   in Loop: Header=BB1_9 Depth=1
	s_waitcnt lgkmcnt(0)
	v_add_u32_e32 v22, 8, v2
.LBB1_24:                               ;   in Loop: Header=BB1_9 Depth=1
	s_or_b64 exec, exec, s[4:5]
	v_lshlrev_b32_e32 v3, 1, v21
	ds_read_u16 v20, v3
	s_waitcnt lgkmcnt(1)
	v_add_u32_e32 v23, -1, v22
	v_mov_b32_e32 v3, v21
.LBB1_25:                               ;   in Loop: Header=BB1_9 Depth=1
	s_or_b64 exec, exec, s[2:3]
	v_add_u32_e32 v21, 2, v2
	v_cmp_eq_u32_e32 vcc, v21, v23
	s_waitcnt lgkmcnt(0)
	v_mov_b32_e32 v21, v20
	s_and_saveexec_b64 s[2:3], vcc
	s_cbranch_execz .LBB1_31
; %bb.26:                               ;   in Loop: Header=BB1_9 Depth=1
	v_add_u32_e32 v22, 1, v3
	v_cmp_ne_u32_e32 vcc, s7, v22
                                        ; implicit-def: $vgpr23
	s_and_saveexec_b64 s[4:5], vcc
	s_xor_b64 s[4:5], exec, s[4:5]
	s_cbranch_execz .LBB1_28
; %bb.27:                               ;   in Loop: Header=BB1_9 Depth=1
	v_lshlrev_b32_e32 v3, 2, v3
	ds_read_b32 v23, v3 offset:4616
.LBB1_28:                               ;   in Loop: Header=BB1_9 Depth=1
	s_andn2_saveexec_b64 s[4:5], s[4:5]
	s_cbranch_execz .LBB1_30
; %bb.29:                               ;   in Loop: Header=BB1_9 Depth=1
	s_waitcnt lgkmcnt(0)
	v_add_u32_e32 v23, 9, v2
.LBB1_30:                               ;   in Loop: Header=BB1_9 Depth=1
	s_or_b64 exec, exec, s[4:5]
	v_lshlrev_b32_e32 v3, 1, v22
	ds_read_u16 v21, v3
	s_waitcnt lgkmcnt(1)
	v_add_u32_e32 v23, -1, v23
	v_mov_b32_e32 v3, v22
.LBB1_31:                               ;   in Loop: Header=BB1_9 Depth=1
	s_or_b64 exec, exec, s[2:3]
	v_add_u32_e32 v22, 3, v2
	v_cmp_eq_u32_e32 vcc, v22, v23
	s_waitcnt lgkmcnt(0)
	v_mov_b32_e32 v22, v21
	s_and_saveexec_b64 s[2:3], vcc
	s_cbranch_execz .LBB1_37
; %bb.32:                               ;   in Loop: Header=BB1_9 Depth=1
	v_add_u32_e32 v24, 1, v3
	v_cmp_ne_u32_e32 vcc, s7, v24
                                        ; implicit-def: $vgpr23
	s_and_saveexec_b64 s[4:5], vcc
	s_xor_b64 s[4:5], exec, s[4:5]
	s_cbranch_execz .LBB1_34
; %bb.33:                               ;   in Loop: Header=BB1_9 Depth=1
	v_lshlrev_b32_e32 v3, 2, v3
	ds_read_b32 v23, v3 offset:4616
.LBB1_34:                               ;   in Loop: Header=BB1_9 Depth=1
	s_andn2_saveexec_b64 s[4:5], s[4:5]
	s_cbranch_execz .LBB1_36
; %bb.35:                               ;   in Loop: Header=BB1_9 Depth=1
	s_waitcnt lgkmcnt(0)
	v_add_u32_e32 v23, 10, v2
.LBB1_36:                               ;   in Loop: Header=BB1_9 Depth=1
	s_or_b64 exec, exec, s[4:5]
	v_lshlrev_b32_e32 v3, 1, v24
	ds_read_u16 v22, v3
	s_waitcnt lgkmcnt(1)
	v_add_u32_e32 v23, -1, v23
	v_mov_b32_e32 v3, v24
.LBB1_37:                               ;   in Loop: Header=BB1_9 Depth=1
	;; [unrolled: 31-line block ×3, first 2 shown]
	s_or_b64 exec, exec, s[2:3]
	v_add_u32_e32 v2, 5, v2
	v_cmp_eq_u32_e32 vcc, v2, v23
	s_waitcnt lgkmcnt(0)
	v_mov_b32_e32 v23, v24
	s_and_saveexec_b64 s[2:3], vcc
	s_cbranch_execz .LBB1_45
; %bb.44:                               ;   in Loop: Header=BB1_9 Depth=1
	v_lshlrev_b32_e32 v2, 1, v3
	ds_read_u16 v23, v2 offset:2
.LBB1_45:                               ;   in Loop: Header=BB1_9 Depth=1
	s_or_b64 exec, exec, s[2:3]
	s_lshl_b64 s[2:3], s[0:1], 1
	v_mov_b32_e32 v3, s3
	v_add_co_u32_e32 v2, vcc, s2, v1
	s_min_u32 s4, s8, 0x700
	v_addc_co_u32_e32 v3, vcc, v6, v3, vcc
	v_cmp_gt_u32_e32 vcc, s4, v0
	s_and_saveexec_b64 s[2:3], vcc
	s_cbranch_execnz .LBB1_52
; %bb.46:                               ;   in Loop: Header=BB1_9 Depth=1
	s_or_b64 exec, exec, s[2:3]
	v_cmp_gt_u32_e32 vcc, s4, v7
	s_and_saveexec_b64 s[2:3], vcc
	s_cbranch_execnz .LBB1_53
.LBB1_47:                               ;   in Loop: Header=BB1_9 Depth=1
	s_or_b64 exec, exec, s[2:3]
	v_cmp_gt_u32_e32 vcc, s4, v8
	s_and_saveexec_b64 s[2:3], vcc
	s_cbranch_execnz .LBB1_54
.LBB1_48:                               ;   in Loop: Header=BB1_9 Depth=1
	s_or_b64 exec, exec, s[2:3]
	v_cmp_gt_u32_e32 vcc, s4, v9
	s_and_saveexec_b64 s[2:3], vcc
	s_cbranch_execnz .LBB1_55
.LBB1_49:                               ;   in Loop: Header=BB1_9 Depth=1
	s_or_b64 exec, exec, s[2:3]
	v_cmp_gt_u32_e32 vcc, s4, v10
	s_and_saveexec_b64 s[2:3], vcc
	s_cbranch_execnz .LBB1_56
.LBB1_50:                               ;   in Loop: Header=BB1_9 Depth=1
	s_or_b64 exec, exec, s[2:3]
	v_cmp_gt_u32_e32 vcc, s4, v11
	s_and_saveexec_b64 s[2:3], vcc
	s_cbranch_execnz .LBB1_57
.LBB1_51:                               ;   in Loop: Header=BB1_9 Depth=1
	s_or_b64 exec, exec, s[2:3]
	v_cmp_gt_u32_e32 vcc, s4, v12
	s_and_saveexec_b64 s[2:3], vcc
	s_cbranch_execz .LBB1_8
	s_branch .LBB1_58
.LBB1_52:                               ;   in Loop: Header=BB1_9 Depth=1
	global_store_short v[2:3], v18, off
	s_or_b64 exec, exec, s[2:3]
	v_cmp_gt_u32_e32 vcc, s4, v7
	s_and_saveexec_b64 s[2:3], vcc
	s_cbranch_execz .LBB1_47
.LBB1_53:                               ;   in Loop: Header=BB1_9 Depth=1
	global_store_short v[2:3], v19, off offset:2
	s_or_b64 exec, exec, s[2:3]
	v_cmp_gt_u32_e32 vcc, s4, v8
	s_and_saveexec_b64 s[2:3], vcc
	s_cbranch_execz .LBB1_48
.LBB1_54:                               ;   in Loop: Header=BB1_9 Depth=1
	global_store_short v[2:3], v20, off offset:4
	s_or_b64 exec, exec, s[2:3]
	v_cmp_gt_u32_e32 vcc, s4, v9
	s_and_saveexec_b64 s[2:3], vcc
	s_cbranch_execz .LBB1_49
.LBB1_55:                               ;   in Loop: Header=BB1_9 Depth=1
	global_store_short v[2:3], v21, off offset:6
	s_or_b64 exec, exec, s[2:3]
	v_cmp_gt_u32_e32 vcc, s4, v10
	s_and_saveexec_b64 s[2:3], vcc
	s_cbranch_execz .LBB1_50
.LBB1_56:                               ;   in Loop: Header=BB1_9 Depth=1
	global_store_short v[2:3], v22, off offset:8
	s_or_b64 exec, exec, s[2:3]
	v_cmp_gt_u32_e32 vcc, s4, v11
	s_and_saveexec_b64 s[2:3], vcc
	s_cbranch_execz .LBB1_51
.LBB1_57:                               ;   in Loop: Header=BB1_9 Depth=1
	global_store_short v[2:3], v24, off offset:10
	s_or_b64 exec, exec, s[2:3]
	v_cmp_gt_u32_e32 vcc, s4, v12
	s_and_saveexec_b64 s[2:3], vcc
	s_cbranch_execz .LBB1_8
.LBB1_58:                               ;   in Loop: Header=BB1_9 Depth=1
	s_waitcnt lgkmcnt(0)
	global_store_short v[2:3], v23, off offset:12
	s_branch .LBB1_8
.LBB1_59:
	s_endpgm
	.section	.rodata,"a",@progbits
	.p2align	6, 0x0
	.amdhsa_kernel _Z30block_run_length_decode_kernelI6__halfiLj256ELj9ELj7EEvPKT_PKT0_PS1_
		.amdhsa_group_segment_fixed_size 13824
		.amdhsa_private_segment_fixed_size 0
		.amdhsa_kernarg_size 24
		.amdhsa_user_sgpr_count 6
		.amdhsa_user_sgpr_private_segment_buffer 1
		.amdhsa_user_sgpr_dispatch_ptr 0
		.amdhsa_user_sgpr_queue_ptr 0
		.amdhsa_user_sgpr_kernarg_segment_ptr 1
		.amdhsa_user_sgpr_dispatch_id 0
		.amdhsa_user_sgpr_flat_scratch_init 0
		.amdhsa_user_sgpr_kernarg_preload_length 0
		.amdhsa_user_sgpr_kernarg_preload_offset 0
		.amdhsa_user_sgpr_private_segment_size 0
		.amdhsa_uses_dynamic_stack 0
		.amdhsa_system_sgpr_private_segment_wavefront_offset 0
		.amdhsa_system_sgpr_workgroup_id_x 1
		.amdhsa_system_sgpr_workgroup_id_y 0
		.amdhsa_system_sgpr_workgroup_id_z 0
		.amdhsa_system_sgpr_workgroup_info 0
		.amdhsa_system_vgpr_workitem_id 0
		.amdhsa_next_free_vgpr 26
		.amdhsa_next_free_sgpr 9
		.amdhsa_accum_offset 28
		.amdhsa_reserve_vcc 1
		.amdhsa_reserve_flat_scratch 0
		.amdhsa_float_round_mode_32 0
		.amdhsa_float_round_mode_16_64 0
		.amdhsa_float_denorm_mode_32 3
		.amdhsa_float_denorm_mode_16_64 3
		.amdhsa_dx10_clamp 1
		.amdhsa_ieee_mode 1
		.amdhsa_fp16_overflow 0
		.amdhsa_tg_split 0
		.amdhsa_exception_fp_ieee_invalid_op 0
		.amdhsa_exception_fp_denorm_src 0
		.amdhsa_exception_fp_ieee_div_zero 0
		.amdhsa_exception_fp_ieee_overflow 0
		.amdhsa_exception_fp_ieee_underflow 0
		.amdhsa_exception_fp_ieee_inexact 0
		.amdhsa_exception_int_div_zero 0
	.end_amdhsa_kernel
	.section	.text._Z30block_run_length_decode_kernelI6__halfiLj256ELj9ELj7EEvPKT_PKT0_PS1_,"axG",@progbits,_Z30block_run_length_decode_kernelI6__halfiLj256ELj9ELj7EEvPKT_PKT0_PS1_,comdat
.Lfunc_end1:
	.size	_Z30block_run_length_decode_kernelI6__halfiLj256ELj9ELj7EEvPKT_PKT0_PS1_, .Lfunc_end1-_Z30block_run_length_decode_kernelI6__halfiLj256ELj9ELj7EEvPKT_PKT0_PS1_
                                        ; -- End function
	.section	.AMDGPU.csdata,"",@progbits
; Kernel info:
; codeLenInByte = 2572
; NumSgprs: 13
; NumVgprs: 26
; NumAgprs: 0
; TotalNumVgprs: 26
; ScratchSize: 0
; MemoryBound: 0
; FloatMode: 240
; IeeeMode: 1
; LDSByteSize: 13824 bytes/workgroup (compile time only)
; SGPRBlocks: 1
; VGPRBlocks: 3
; NumSGPRsForWavesPerEU: 13
; NumVGPRsForWavesPerEU: 26
; AccumOffset: 28
; Occupancy: 4
; WaveLimiterHint : 0
; COMPUTE_PGM_RSRC2:SCRATCH_EN: 0
; COMPUTE_PGM_RSRC2:USER_SGPR: 6
; COMPUTE_PGM_RSRC2:TRAP_HANDLER: 0
; COMPUTE_PGM_RSRC2:TGID_X_EN: 1
; COMPUTE_PGM_RSRC2:TGID_Y_EN: 0
; COMPUTE_PGM_RSRC2:TGID_Z_EN: 0
; COMPUTE_PGM_RSRC2:TIDIG_COMP_CNT: 0
; COMPUTE_PGM_RSRC3_GFX90A:ACCUM_OFFSET: 6
; COMPUTE_PGM_RSRC3_GFX90A:TG_SPLIT: 0
	.section	.text._Z30block_run_length_decode_kernelIfiLj256ELj9ELj7EEvPKT_PKT0_PS0_,"axG",@progbits,_Z30block_run_length_decode_kernelIfiLj256ELj9ELj7EEvPKT_PKT0_PS0_,comdat
	.protected	_Z30block_run_length_decode_kernelIfiLj256ELj9ELj7EEvPKT_PKT0_PS0_ ; -- Begin function _Z30block_run_length_decode_kernelIfiLj256ELj9ELj7EEvPKT_PKT0_PS0_
	.globl	_Z30block_run_length_decode_kernelIfiLj256ELj9ELj7EEvPKT_PKT0_PS0_
	.p2align	8
	.type	_Z30block_run_length_decode_kernelIfiLj256ELj9ELj7EEvPKT_PKT0_PS0_,@function
_Z30block_run_length_decode_kernelIfiLj256ELj9ELj7EEvPKT_PKT0_PS0_: ; @_Z30block_run_length_decode_kernelIfiLj256ELj9ELj7EEvPKT_PKT0_PS0_
; %bb.0:
	s_load_dwordx4 s[0:3], s[4:5], 0x0
	v_lshl_or_b32 v18, s6, 8, v0
	v_lshl_add_u32 v2, v18, 3, v18
	v_mov_b32_e32 v3, 0
	v_lshlrev_b64 v[2:3], 2, v[2:3]
	s_waitcnt lgkmcnt(0)
	v_mov_b32_e32 v1, s3
	v_add_co_u32_e32 v4, vcc, s2, v2
	v_addc_co_u32_e32 v5, vcc, v1, v3, vcc
	global_load_dwordx4 v[14:17], v[4:5], off
	global_load_dwordx4 v[10:13], v[4:5], off offset:16
	global_load_dword v22, v[4:5], off offset:32
	v_mov_b32_e32 v1, s1
	v_add_co_u32_e32 v20, vcc, s0, v2
	v_addc_co_u32_e32 v21, vcc, v1, v3, vcc
	global_load_dword v1, v[20:21], off offset:32
	global_load_dwordx4 v[2:5], v[20:21], off offset:16
	global_load_dwordx4 v[6:9], v[20:21], off
	v_mbcnt_lo_u32_b32 v19, -1, 0
	v_mbcnt_hi_u32_b32 v19, -1, v19
	v_and_b32_e32 v21, 15, v19
	v_cmp_ne_u32_e32 vcc, 0, v21
	v_bfe_i32 v24, v19, 4, 1
	v_or_b32_e32 v23, 63, v0
	v_lshrrev_b32_e32 v20, 6, v0
	s_waitcnt vmcnt(5)
	v_add3_u32 v25, v15, v14, v16
	s_waitcnt vmcnt(4)
	v_add3_u32 v25, v25, v17, v10
	v_add3_u32 v25, v25, v11, v12
	s_waitcnt vmcnt(3)
	v_add3_u32 v22, v25, v13, v22
	s_nop 1
	v_mov_b32_dpp v25, v22 row_shr:1 row_mask:0xf bank_mask:0xf
	v_cndmask_b32_e32 v25, 0, v25, vcc
	v_add_u32_e32 v22, v25, v22
	v_cmp_lt_u32_e32 vcc, 1, v21
	s_nop 0
	v_mov_b32_dpp v25, v22 row_shr:2 row_mask:0xf bank_mask:0xf
	v_cndmask_b32_e32 v25, 0, v25, vcc
	v_add_u32_e32 v22, v22, v25
	v_cmp_lt_u32_e32 vcc, 3, v21
	;; [unrolled: 5-line block ×4, first 2 shown]
	s_nop 0
	v_mov_b32_dpp v22, v21 row_bcast:15 row_mask:0xf bank_mask:0xf
	v_and_b32_e32 v22, v24, v22
	v_add_u32_e32 v21, v21, v22
	s_nop 1
	v_mov_b32_dpp v22, v21 row_bcast:31 row_mask:0xf bank_mask:0xf
	v_cndmask_b32_e32 v22, 0, v22, vcc
	v_add_u32_e32 v21, v21, v22
	v_cmp_eq_u32_e32 vcc, v23, v0
	s_and_saveexec_b64 s[0:1], vcc
	s_cbranch_execz .LBB2_2
; %bb.1:
	v_lshlrev_b32_e32 v22, 2, v20
	ds_write_b32 v22, v21
.LBB2_2:
	s_or_b64 exec, exec, s[0:1]
	v_cmp_gt_u32_e32 vcc, 4, v0
	s_waitcnt lgkmcnt(0)
	s_barrier
	s_and_saveexec_b64 s[0:1], vcc
	s_cbranch_execz .LBB2_4
; %bb.3:
	v_lshlrev_b32_e32 v22, 2, v0
	ds_read_b32 v23, v22
	v_and_b32_e32 v24, 3, v19
	v_cmp_ne_u32_e32 vcc, 0, v24
	s_waitcnt lgkmcnt(0)
	v_mov_b32_dpp v25, v23 row_shr:1 row_mask:0xf bank_mask:0xf
	v_cndmask_b32_e32 v25, 0, v25, vcc
	v_add_u32_e32 v23, v25, v23
	v_cmp_lt_u32_e32 vcc, 1, v24
	s_nop 0
	v_mov_b32_dpp v25, v23 row_shr:2 row_mask:0xf bank_mask:0xf
	v_cndmask_b32_e32 v24, 0, v25, vcc
	v_add_u32_e32 v23, v23, v24
	ds_write_b32 v22, v23
.LBB2_4:
	s_or_b64 exec, exec, s[0:1]
	v_cmp_lt_u32_e32 vcc, 63, v0
	v_mov_b32_e32 v22, 0
	v_mov_b32_e32 v23, 0
	s_waitcnt lgkmcnt(0)
	s_barrier
	s_and_saveexec_b64 s[0:1], vcc
	s_cbranch_execz .LBB2_6
; %bb.5:
	v_lshl_add_u32 v20, v20, 2, -4
	ds_read_b32 v23, v20
.LBB2_6:
	s_or_b64 exec, exec, s[0:1]
	s_waitcnt lgkmcnt(0)
	v_add_u32_e32 v20, v23, v21
	v_add_u32_e32 v21, -1, v19
	v_and_b32_e32 v24, 64, v19
	v_cmp_lt_i32_e32 vcc, v21, v24
	v_cndmask_b32_e32 v21, v21, v19, vcc
	v_lshlrev_b32_e32 v21, 2, v21
	ds_bpermute_b32 v20, v21, v20
	v_cmp_eq_u32_e32 vcc, 0, v19
	v_mul_u32_u24_e32 v21, 9, v0
	v_lshlrev_b32_e32 v21, 2, v21
	s_mov_b32 s1, 0
	s_waitcnt lgkmcnt(0)
	v_cndmask_b32_e32 v19, v20, v23, vcc
	v_cmp_ne_u32_e32 vcc, 0, v0
	v_cndmask_b32_e32 v19, 0, v19, vcc
	v_add_u32_e32 v14, v19, v14
	v_add_u32_e32 v15, v14, v15
	ds_read_b32 v20, v22 offset:12
	v_add_u32_e32 v16, v15, v16
	v_add_u32_e32 v17, v16, v17
	;; [unrolled: 1-line block ×4, first 2 shown]
	s_waitcnt lgkmcnt(0)
	s_barrier
	v_add_u32_e32 v22, 0x2400, v21
	s_waitcnt vmcnt(0)
	ds_write2_b32 v21, v6, v7 offset1:1
	ds_write2_b32 v22, v19, v14 offset1:1
	v_add_u32_e32 v6, 0x2408, v21
	v_add_u32_e32 v12, v11, v12
	ds_write2_b32 v21, v8, v9 offset0:2 offset1:3
	ds_write2_b32 v6, v15, v16 offset1:1
	v_add_u32_e32 v6, 0x2410, v21
	ds_write2_b32 v21, v2, v3 offset0:4 offset1:5
	ds_write2_b32 v6, v17, v10 offset1:1
	v_add_u32_e32 v2, 0x2418, v21
	v_cmp_eq_u32_e32 vcc, 0, v20
	v_add_u32_e32 v13, v12, v13
	v_readfirstlane_b32 s6, v20
	ds_write2_b32 v21, v4, v5 offset0:6 offset1:7
	ds_write2_b32 v2, v11, v12 offset1:1
	v_add_u32_e32 v2, 32, v21
	ds_write2st64_b32 v2, v1, v13 offset1:36
	s_waitcnt lgkmcnt(0)
	s_barrier
	s_cbranch_vccnz .LBB2_59
; %bb.7:
	s_load_dwordx2 s[2:3], s[4:5], 0x10
	v_mov_b32_e32 v1, 0
	ds_read_b32 v5, v1 offset:13824
	v_mul_u32_u24_e32 v4, 7, v0
	v_mul_lo_u32 v0, v18, 7
	v_lshlrev_b64 v[2:3], 2, v[0:1]
	s_waitcnt lgkmcnt(0)
	v_mov_b32_e32 v6, s3
	v_add_co_u32_e32 v1, vcc, s2, v2
	v_addc_co_u32_e32 v6, vcc, v6, v3, vcc
	v_add_u32_e32 v7, 1, v0
	v_add_u32_e32 v8, 2, v0
	;; [unrolled: 1-line block ×6, first 2 shown]
	v_mov_b32_e32 v13, 0x481
	v_mov_b32_e32 v14, 0x900
	;; [unrolled: 1-line block ×5, first 2 shown]
	s_movk_i32 s7, 0x8ff
	s_mov_b32 s8, s6
	s_mov_b32 s0, s1
	s_branch .LBB2_9
.LBB2_8:                                ;   in Loop: Header=BB2_9 Depth=1
	s_or_b64 exec, exec, s[2:3]
	s_addk_i32 s0, 0x700
	s_addk_i32 s8, 0xf900
	s_cmp_lt_u32 s0, s6
	s_cbranch_scc0 .LBB2_59
.LBB2_9:                                ; =>This Inner Loop Header: Depth=1
	v_add_u32_e32 v2, s0, v4
	v_cmp_gt_u32_e32 vcc, v5, v2
	v_cndmask_b32_e32 v18, v16, v17, vcc
	v_lshlrev_b32_e32 v19, 2, v18
	ds_read_b32 v19, v19 offset:9216
	v_cndmask_b32_e64 v3, v13, 0, vcc
	v_cndmask_b32_e32 v20, v14, v15, vcc
	v_or_b32_e32 v21, 1, v18
	s_waitcnt lgkmcnt(0)
	v_cmp_gt_u32_e32 vcc, v19, v2
	v_cndmask_b32_e32 v3, v21, v3, vcc
	v_cndmask_b32_e32 v18, v20, v18, vcc
	v_sub_u32_e32 v19, v18, v3
	v_lshrrev_b16_e32 v20, 15, v19
	v_add_u16_e32 v19, v19, v20
	v_ashrrev_i16_e32 v19, 1, v19
	v_add_u32_sdwa v19, v3, sext(v19) dst_sel:DWORD dst_unused:UNUSED_PAD src0_sel:DWORD src1_sel:WORD_0
	v_min_i32_e32 v19, 0x8ff, v19
	v_lshlrev_b32_e32 v20, 2, v19
	ds_read_b32 v20, v20 offset:9216
	v_add_u32_e32 v21, 1, v19
	s_waitcnt lgkmcnt(0)
	v_cmp_gt_u32_e32 vcc, v20, v2
	v_cndmask_b32_e32 v3, v21, v3, vcc
	v_cndmask_b32_e32 v18, v18, v19, vcc
	v_sub_u32_e32 v19, v18, v3
	v_lshrrev_b16_e32 v20, 15, v19
	v_add_u16_e32 v19, v19, v20
	v_ashrrev_i16_e32 v19, 1, v19
	v_add_u32_sdwa v19, v3, sext(v19) dst_sel:DWORD dst_unused:UNUSED_PAD src0_sel:DWORD src1_sel:WORD_0
	v_min_i32_e32 v19, 0x8ff, v19
	v_lshlrev_b32_e32 v20, 2, v19
	ds_read_b32 v20, v20 offset:9216
	v_add_u32_e32 v21, 1, v19
	;; [unrolled: 13-line block ×7, first 2 shown]
	s_waitcnt lgkmcnt(0)
	v_cmp_gt_u32_e32 vcc, v20, v2
	v_cndmask_b32_e32 v3, v21, v3, vcc
	v_cndmask_b32_e32 v18, v18, v19, vcc
	v_sub_u32_e32 v19, v18, v3
	v_lshrrev_b32_e32 v20, 31, v19
	v_add_u32_e32 v19, v19, v20
	v_ashrrev_i32_e32 v19, 1, v19
	v_add_u32_e32 v19, v19, v3
	v_min_i32_e32 v19, 0x8ff, v19
	v_lshlrev_b32_e32 v20, 2, v19
	ds_read_b32 v20, v20 offset:9216
	v_add_u32_e32 v21, 1, v19
	s_waitcnt lgkmcnt(0)
	v_cmp_gt_u32_e32 vcc, v20, v2
	v_cndmask_b32_e32 v3, v21, v3, vcc
	v_cndmask_b32_e32 v18, v18, v19, vcc
	v_sub_u32_e32 v19, v18, v3
	v_lshrrev_b32_e32 v20, 31, v19
	v_add_u32_e32 v19, v19, v20
	v_ashrrev_i32_e32 v19, 1, v19
	v_add_u32_e32 v19, v19, v3
	v_min_i32_e32 v19, 0x8ff, v19
	v_lshlrev_b32_e32 v20, 2, v19
	ds_read_b32 v20, v20 offset:9216
	v_add_u32_e32 v21, 1, v19
	;; [unrolled: 13-line block ×4, first 2 shown]
	s_waitcnt lgkmcnt(0)
	v_cmp_gt_u32_e32 vcc, v19, v2
	v_cndmask_b32_e32 v20, v18, v3, vcc
	v_add_u32_e32 v3, -1, v20
	v_cmp_ne_u32_e32 vcc, s7, v3
                                        ; implicit-def: $vgpr19
	s_and_saveexec_b64 s[2:3], vcc
	s_xor_b64 s[2:3], exec, s[2:3]
	s_cbranch_execz .LBB2_11
; %bb.10:                               ;   in Loop: Header=BB2_9 Depth=1
	v_lshlrev_b32_e32 v18, 2, v20
	ds_read_b32 v19, v18 offset:9216
.LBB2_11:                               ;   in Loop: Header=BB2_9 Depth=1
	s_andn2_saveexec_b64 s[2:3], s[2:3]
	s_cbranch_execz .LBB2_13
; %bb.12:                               ;   in Loop: Header=BB2_9 Depth=1
	s_waitcnt lgkmcnt(0)
	v_add_u32_e32 v19, 7, v2
.LBB2_13:                               ;   in Loop: Header=BB2_9 Depth=1
	s_or_b64 exec, exec, s[2:3]
	v_lshlrev_b32_e32 v18, 2, v3
	ds_read_b32 v18, v18
	s_waitcnt lgkmcnt(1)
	v_add_u32_e32 v23, -1, v19
	v_cmp_eq_u32_e32 vcc, v2, v23
	s_waitcnt lgkmcnt(0)
	v_mov_b32_e32 v19, v18
	s_and_saveexec_b64 s[2:3], vcc
	s_cbranch_execz .LBB2_19
; %bb.14:                               ;   in Loop: Header=BB2_9 Depth=1
	v_cmp_ne_u32_e32 vcc, s7, v20
	v_lshlrev_b32_e32 v3, 2, v20
                                        ; implicit-def: $vgpr21
	s_and_saveexec_b64 s[4:5], vcc
	s_xor_b64 s[4:5], exec, s[4:5]
	s_cbranch_execz .LBB2_16
; %bb.15:                               ;   in Loop: Header=BB2_9 Depth=1
	ds_read_b32 v21, v3 offset:9220
.LBB2_16:                               ;   in Loop: Header=BB2_9 Depth=1
	s_andn2_saveexec_b64 s[4:5], s[4:5]
	s_cbranch_execz .LBB2_18
; %bb.17:                               ;   in Loop: Header=BB2_9 Depth=1
	s_waitcnt lgkmcnt(0)
	v_add_u32_e32 v21, 7, v2
.LBB2_18:                               ;   in Loop: Header=BB2_9 Depth=1
	s_or_b64 exec, exec, s[4:5]
	ds_read_b32 v19, v3
	s_waitcnt lgkmcnt(1)
	v_add_u32_e32 v23, -1, v21
	v_mov_b32_e32 v3, v20
.LBB2_19:                               ;   in Loop: Header=BB2_9 Depth=1
	s_or_b64 exec, exec, s[2:3]
	v_add_u32_e32 v20, 1, v2
	v_cmp_eq_u32_e32 vcc, v20, v23
	s_waitcnt lgkmcnt(0)
	v_mov_b32_e32 v20, v19
	s_and_saveexec_b64 s[2:3], vcc
	s_cbranch_execz .LBB2_25
; %bb.20:                               ;   in Loop: Header=BB2_9 Depth=1
	v_add_u32_e32 v21, 1, v3
	v_cmp_ne_u32_e32 vcc, s7, v21
                                        ; implicit-def: $vgpr22
	s_and_saveexec_b64 s[4:5], vcc
	s_xor_b64 s[4:5], exec, s[4:5]
	s_cbranch_execz .LBB2_22
; %bb.21:                               ;   in Loop: Header=BB2_9 Depth=1
	v_lshlrev_b32_e32 v3, 2, v3
	ds_read_b32 v22, v3 offset:9224
.LBB2_22:                               ;   in Loop: Header=BB2_9 Depth=1
	s_andn2_saveexec_b64 s[4:5], s[4:5]
	s_cbranch_execz .LBB2_24
; %bb.23:                               ;   in Loop: Header=BB2_9 Depth=1
	s_waitcnt lgkmcnt(0)
	v_add_u32_e32 v22, 8, v2
.LBB2_24:                               ;   in Loop: Header=BB2_9 Depth=1
	s_or_b64 exec, exec, s[4:5]
	v_lshlrev_b32_e32 v3, 2, v21
	ds_read_b32 v20, v3
	s_waitcnt lgkmcnt(1)
	v_add_u32_e32 v23, -1, v22
	v_mov_b32_e32 v3, v21
.LBB2_25:                               ;   in Loop: Header=BB2_9 Depth=1
	s_or_b64 exec, exec, s[2:3]
	v_add_u32_e32 v21, 2, v2
	v_cmp_eq_u32_e32 vcc, v21, v23
	s_waitcnt lgkmcnt(0)
	v_mov_b32_e32 v21, v20
	s_and_saveexec_b64 s[2:3], vcc
	s_cbranch_execz .LBB2_31
; %bb.26:                               ;   in Loop: Header=BB2_9 Depth=1
	v_add_u32_e32 v22, 1, v3
	v_cmp_ne_u32_e32 vcc, s7, v22
                                        ; implicit-def: $vgpr23
	s_and_saveexec_b64 s[4:5], vcc
	s_xor_b64 s[4:5], exec, s[4:5]
	s_cbranch_execz .LBB2_28
; %bb.27:                               ;   in Loop: Header=BB2_9 Depth=1
	v_lshlrev_b32_e32 v3, 2, v3
	ds_read_b32 v23, v3 offset:9224
.LBB2_28:                               ;   in Loop: Header=BB2_9 Depth=1
	s_andn2_saveexec_b64 s[4:5], s[4:5]
	s_cbranch_execz .LBB2_30
; %bb.29:                               ;   in Loop: Header=BB2_9 Depth=1
	s_waitcnt lgkmcnt(0)
	v_add_u32_e32 v23, 9, v2
.LBB2_30:                               ;   in Loop: Header=BB2_9 Depth=1
	s_or_b64 exec, exec, s[4:5]
	v_lshlrev_b32_e32 v3, 2, v22
	ds_read_b32 v21, v3
	s_waitcnt lgkmcnt(1)
	v_add_u32_e32 v23, -1, v23
	v_mov_b32_e32 v3, v22
.LBB2_31:                               ;   in Loop: Header=BB2_9 Depth=1
	s_or_b64 exec, exec, s[2:3]
	v_add_u32_e32 v22, 3, v2
	v_cmp_eq_u32_e32 vcc, v22, v23
	s_waitcnt lgkmcnt(0)
	v_mov_b32_e32 v22, v21
	s_and_saveexec_b64 s[2:3], vcc
	s_cbranch_execz .LBB2_37
; %bb.32:                               ;   in Loop: Header=BB2_9 Depth=1
	v_add_u32_e32 v24, 1, v3
	v_cmp_ne_u32_e32 vcc, s7, v24
                                        ; implicit-def: $vgpr23
	s_and_saveexec_b64 s[4:5], vcc
	s_xor_b64 s[4:5], exec, s[4:5]
	s_cbranch_execz .LBB2_34
; %bb.33:                               ;   in Loop: Header=BB2_9 Depth=1
	v_lshlrev_b32_e32 v3, 2, v3
	ds_read_b32 v23, v3 offset:9224
.LBB2_34:                               ;   in Loop: Header=BB2_9 Depth=1
	s_andn2_saveexec_b64 s[4:5], s[4:5]
	s_cbranch_execz .LBB2_36
; %bb.35:                               ;   in Loop: Header=BB2_9 Depth=1
	s_waitcnt lgkmcnt(0)
	v_add_u32_e32 v23, 10, v2
.LBB2_36:                               ;   in Loop: Header=BB2_9 Depth=1
	s_or_b64 exec, exec, s[4:5]
	v_lshlrev_b32_e32 v3, 2, v24
	ds_read_b32 v22, v3
	s_waitcnt lgkmcnt(1)
	v_add_u32_e32 v23, -1, v23
	v_mov_b32_e32 v3, v24
.LBB2_37:                               ;   in Loop: Header=BB2_9 Depth=1
	;; [unrolled: 31-line block ×3, first 2 shown]
	s_or_b64 exec, exec, s[2:3]
	v_add_u32_e32 v2, 5, v2
	v_cmp_eq_u32_e32 vcc, v2, v23
	s_waitcnt lgkmcnt(0)
	v_mov_b32_e32 v23, v24
	s_and_saveexec_b64 s[2:3], vcc
	s_cbranch_execz .LBB2_45
; %bb.44:                               ;   in Loop: Header=BB2_9 Depth=1
	v_lshlrev_b32_e32 v2, 2, v3
	ds_read_b32 v23, v2 offset:4
.LBB2_45:                               ;   in Loop: Header=BB2_9 Depth=1
	s_or_b64 exec, exec, s[2:3]
	s_lshl_b64 s[2:3], s[0:1], 2
	v_mov_b32_e32 v3, s3
	v_add_co_u32_e32 v2, vcc, s2, v1
	s_min_u32 s4, s8, 0x700
	v_addc_co_u32_e32 v3, vcc, v6, v3, vcc
	v_cmp_gt_u32_e32 vcc, s4, v0
	s_and_saveexec_b64 s[2:3], vcc
	s_cbranch_execnz .LBB2_52
; %bb.46:                               ;   in Loop: Header=BB2_9 Depth=1
	s_or_b64 exec, exec, s[2:3]
	v_cmp_gt_u32_e32 vcc, s4, v7
	s_and_saveexec_b64 s[2:3], vcc
	s_cbranch_execnz .LBB2_53
.LBB2_47:                               ;   in Loop: Header=BB2_9 Depth=1
	s_or_b64 exec, exec, s[2:3]
	v_cmp_gt_u32_e32 vcc, s4, v8
	s_and_saveexec_b64 s[2:3], vcc
	s_cbranch_execnz .LBB2_54
.LBB2_48:                               ;   in Loop: Header=BB2_9 Depth=1
	s_or_b64 exec, exec, s[2:3]
	v_cmp_gt_u32_e32 vcc, s4, v9
	s_and_saveexec_b64 s[2:3], vcc
	s_cbranch_execnz .LBB2_55
.LBB2_49:                               ;   in Loop: Header=BB2_9 Depth=1
	s_or_b64 exec, exec, s[2:3]
	v_cmp_gt_u32_e32 vcc, s4, v10
	s_and_saveexec_b64 s[2:3], vcc
	s_cbranch_execnz .LBB2_56
.LBB2_50:                               ;   in Loop: Header=BB2_9 Depth=1
	s_or_b64 exec, exec, s[2:3]
	v_cmp_gt_u32_e32 vcc, s4, v11
	s_and_saveexec_b64 s[2:3], vcc
	s_cbranch_execnz .LBB2_57
.LBB2_51:                               ;   in Loop: Header=BB2_9 Depth=1
	s_or_b64 exec, exec, s[2:3]
	v_cmp_gt_u32_e32 vcc, s4, v12
	s_and_saveexec_b64 s[2:3], vcc
	s_cbranch_execz .LBB2_8
	s_branch .LBB2_58
.LBB2_52:                               ;   in Loop: Header=BB2_9 Depth=1
	global_store_dword v[2:3], v18, off
	s_or_b64 exec, exec, s[2:3]
	v_cmp_gt_u32_e32 vcc, s4, v7
	s_and_saveexec_b64 s[2:3], vcc
	s_cbranch_execz .LBB2_47
.LBB2_53:                               ;   in Loop: Header=BB2_9 Depth=1
	global_store_dword v[2:3], v19, off offset:4
	s_or_b64 exec, exec, s[2:3]
	v_cmp_gt_u32_e32 vcc, s4, v8
	s_and_saveexec_b64 s[2:3], vcc
	s_cbranch_execz .LBB2_48
.LBB2_54:                               ;   in Loop: Header=BB2_9 Depth=1
	global_store_dword v[2:3], v20, off offset:8
	s_or_b64 exec, exec, s[2:3]
	v_cmp_gt_u32_e32 vcc, s4, v9
	s_and_saveexec_b64 s[2:3], vcc
	s_cbranch_execz .LBB2_49
.LBB2_55:                               ;   in Loop: Header=BB2_9 Depth=1
	global_store_dword v[2:3], v21, off offset:12
	s_or_b64 exec, exec, s[2:3]
	v_cmp_gt_u32_e32 vcc, s4, v10
	s_and_saveexec_b64 s[2:3], vcc
	s_cbranch_execz .LBB2_50
.LBB2_56:                               ;   in Loop: Header=BB2_9 Depth=1
	global_store_dword v[2:3], v22, off offset:16
	s_or_b64 exec, exec, s[2:3]
	v_cmp_gt_u32_e32 vcc, s4, v11
	s_and_saveexec_b64 s[2:3], vcc
	s_cbranch_execz .LBB2_51
.LBB2_57:                               ;   in Loop: Header=BB2_9 Depth=1
	global_store_dword v[2:3], v24, off offset:20
	s_or_b64 exec, exec, s[2:3]
	v_cmp_gt_u32_e32 vcc, s4, v12
	s_and_saveexec_b64 s[2:3], vcc
	s_cbranch_execz .LBB2_8
.LBB2_58:                               ;   in Loop: Header=BB2_9 Depth=1
	s_waitcnt lgkmcnt(0)
	global_store_dword v[2:3], v23, off offset:24
	s_branch .LBB2_8
.LBB2_59:
	s_endpgm
	.section	.rodata,"a",@progbits
	.p2align	6, 0x0
	.amdhsa_kernel _Z30block_run_length_decode_kernelIfiLj256ELj9ELj7EEvPKT_PKT0_PS0_
		.amdhsa_group_segment_fixed_size 18432
		.amdhsa_private_segment_fixed_size 0
		.amdhsa_kernarg_size 24
		.amdhsa_user_sgpr_count 6
		.amdhsa_user_sgpr_private_segment_buffer 1
		.amdhsa_user_sgpr_dispatch_ptr 0
		.amdhsa_user_sgpr_queue_ptr 0
		.amdhsa_user_sgpr_kernarg_segment_ptr 1
		.amdhsa_user_sgpr_dispatch_id 0
		.amdhsa_user_sgpr_flat_scratch_init 0
		.amdhsa_user_sgpr_kernarg_preload_length 0
		.amdhsa_user_sgpr_kernarg_preload_offset 0
		.amdhsa_user_sgpr_private_segment_size 0
		.amdhsa_uses_dynamic_stack 0
		.amdhsa_system_sgpr_private_segment_wavefront_offset 0
		.amdhsa_system_sgpr_workgroup_id_x 1
		.amdhsa_system_sgpr_workgroup_id_y 0
		.amdhsa_system_sgpr_workgroup_id_z 0
		.amdhsa_system_sgpr_workgroup_info 0
		.amdhsa_system_vgpr_workitem_id 0
		.amdhsa_next_free_vgpr 26
		.amdhsa_next_free_sgpr 9
		.amdhsa_accum_offset 28
		.amdhsa_reserve_vcc 1
		.amdhsa_reserve_flat_scratch 0
		.amdhsa_float_round_mode_32 0
		.amdhsa_float_round_mode_16_64 0
		.amdhsa_float_denorm_mode_32 3
		.amdhsa_float_denorm_mode_16_64 3
		.amdhsa_dx10_clamp 1
		.amdhsa_ieee_mode 1
		.amdhsa_fp16_overflow 0
		.amdhsa_tg_split 0
		.amdhsa_exception_fp_ieee_invalid_op 0
		.amdhsa_exception_fp_denorm_src 0
		.amdhsa_exception_fp_ieee_div_zero 0
		.amdhsa_exception_fp_ieee_overflow 0
		.amdhsa_exception_fp_ieee_underflow 0
		.amdhsa_exception_fp_ieee_inexact 0
		.amdhsa_exception_int_div_zero 0
	.end_amdhsa_kernel
	.section	.text._Z30block_run_length_decode_kernelIfiLj256ELj9ELj7EEvPKT_PKT0_PS0_,"axG",@progbits,_Z30block_run_length_decode_kernelIfiLj256ELj9ELj7EEvPKT_PKT0_PS0_,comdat
.Lfunc_end2:
	.size	_Z30block_run_length_decode_kernelIfiLj256ELj9ELj7EEvPKT_PKT0_PS0_, .Lfunc_end2-_Z30block_run_length_decode_kernelIfiLj256ELj9ELj7EEvPKT_PKT0_PS0_
                                        ; -- End function
	.section	.AMDGPU.csdata,"",@progbits
; Kernel info:
; codeLenInByte = 2568
; NumSgprs: 13
; NumVgprs: 26
; NumAgprs: 0
; TotalNumVgprs: 26
; ScratchSize: 0
; MemoryBound: 0
; FloatMode: 240
; IeeeMode: 1
; LDSByteSize: 18432 bytes/workgroup (compile time only)
; SGPRBlocks: 1
; VGPRBlocks: 3
; NumSGPRsForWavesPerEU: 13
; NumVGPRsForWavesPerEU: 26
; AccumOffset: 28
; Occupancy: 3
; WaveLimiterHint : 0
; COMPUTE_PGM_RSRC2:SCRATCH_EN: 0
; COMPUTE_PGM_RSRC2:USER_SGPR: 6
; COMPUTE_PGM_RSRC2:TRAP_HANDLER: 0
; COMPUTE_PGM_RSRC2:TGID_X_EN: 1
; COMPUTE_PGM_RSRC2:TGID_Y_EN: 0
; COMPUTE_PGM_RSRC2:TGID_Z_EN: 0
; COMPUTE_PGM_RSRC2:TIDIG_COMP_CNT: 0
; COMPUTE_PGM_RSRC3_GFX90A:ACCUM_OFFSET: 6
; COMPUTE_PGM_RSRC3_GFX90A:TG_SPLIT: 0
	.section	.text._Z30block_run_length_decode_kernelIcxLj256ELj9ELj7EEvPKT_PKT0_PS0_,"axG",@progbits,_Z30block_run_length_decode_kernelIcxLj256ELj9ELj7EEvPKT_PKT0_PS0_,comdat
	.protected	_Z30block_run_length_decode_kernelIcxLj256ELj9ELj7EEvPKT_PKT0_PS0_ ; -- Begin function _Z30block_run_length_decode_kernelIcxLj256ELj9ELj7EEvPKT_PKT0_PS0_
	.globl	_Z30block_run_length_decode_kernelIcxLj256ELj9ELj7EEvPKT_PKT0_PS0_
	.p2align	8
	.type	_Z30block_run_length_decode_kernelIcxLj256ELj9ELj7EEvPKT_PKT0_PS0_,@function
_Z30block_run_length_decode_kernelIcxLj256ELj9ELj7EEvPKT_PKT0_PS0_: ; @_Z30block_run_length_decode_kernelIcxLj256ELj9ELj7EEvPKT_PKT0_PS0_
; %bb.0:
	s_load_dwordx4 s[0:3], s[4:5], 0x0
	v_lshl_or_b32 v1, s6, 8, v0
	v_lshl_add_u32 v20, v1, 3, v1
	v_mov_b32_e32 v21, 0
	v_lshlrev_b64 v[2:3], 3, v[20:21]
	s_waitcnt lgkmcnt(0)
	v_mov_b32_e32 v4, s3
	v_add_co_u32_e32 v22, vcc, s2, v2
	v_addc_co_u32_e32 v23, vcc, v4, v3, vcc
	global_load_dwordx4 v[10:13], v[22:23], off offset:16
	global_load_dwordx4 v[14:17], v[22:23], off
	global_load_dwordx4 v[6:9], v[22:23], off offset:32
	global_load_dwordx4 v[2:5], v[22:23], off offset:48
	global_load_dword v9, v[22:23], off offset:64
	global_load_ubyte v3, v20, s[0:1] offset:8
	global_load_dwordx2 v[18:19], v20, s[0:1]
	s_waitcnt vmcnt(3)
	v_mbcnt_lo_u32_b32 v5, -1, 0
	v_mbcnt_hi_u32_b32 v5, -1, v5
	v_and_b32_e32 v13, 15, v5
	v_cmp_ne_u32_e32 vcc, 0, v13
	v_bfe_i32 v15, v5, 4, 1
	v_or_b32_e32 v11, 63, v0
	v_lshrrev_b32_e32 v7, 6, v0
	v_add3_u32 v17, v16, v14, v10
	v_add3_u32 v17, v17, v12, v6
	;; [unrolled: 1-line block ×3, first 2 shown]
	s_waitcnt vmcnt(2)
	v_add3_u32 v9, v17, v4, v9
	s_nop 1
	v_mov_b32_dpp v17, v9 row_shr:1 row_mask:0xf bank_mask:0xf
	v_cndmask_b32_e32 v17, 0, v17, vcc
	v_add_u32_e32 v9, v17, v9
	v_cmp_lt_u32_e32 vcc, 1, v13
	s_nop 0
	v_mov_b32_dpp v17, v9 row_shr:2 row_mask:0xf bank_mask:0xf
	v_cndmask_b32_e32 v17, 0, v17, vcc
	v_add_u32_e32 v9, v9, v17
	v_cmp_lt_u32_e32 vcc, 3, v13
	;; [unrolled: 5-line block ×4, first 2 shown]
	s_nop 0
	v_mov_b32_dpp v13, v9 row_bcast:15 row_mask:0xf bank_mask:0xf
	v_and_b32_e32 v13, v15, v13
	v_add_u32_e32 v9, v9, v13
	s_nop 1
	v_mov_b32_dpp v13, v9 row_bcast:31 row_mask:0xf bank_mask:0xf
	v_cndmask_b32_e32 v13, 0, v13, vcc
	v_add_u32_e32 v9, v9, v13
	v_cmp_eq_u32_e32 vcc, v11, v0
	s_and_saveexec_b64 s[0:1], vcc
	s_cbranch_execz .LBB3_2
; %bb.1:
	v_lshlrev_b32_e32 v11, 2, v7
	ds_write_b32 v11, v9
.LBB3_2:
	s_or_b64 exec, exec, s[0:1]
	v_cmp_gt_u32_e32 vcc, 4, v0
	s_waitcnt lgkmcnt(0)
	s_barrier
	s_and_saveexec_b64 s[0:1], vcc
	s_cbranch_execz .LBB3_4
; %bb.3:
	v_lshlrev_b32_e32 v11, 2, v0
	ds_read_b32 v13, v11
	v_and_b32_e32 v15, 3, v5
	v_cmp_ne_u32_e32 vcc, 0, v15
	s_waitcnt lgkmcnt(0)
	v_mov_b32_dpp v17, v13 row_shr:1 row_mask:0xf bank_mask:0xf
	v_cndmask_b32_e32 v17, 0, v17, vcc
	v_add_u32_e32 v13, v17, v13
	v_cmp_lt_u32_e32 vcc, 1, v15
	s_nop 0
	v_mov_b32_dpp v17, v13 row_shr:2 row_mask:0xf bank_mask:0xf
	v_cndmask_b32_e32 v15, 0, v17, vcc
	v_add_u32_e32 v13, v13, v15
	ds_write_b32 v11, v13
.LBB3_4:
	s_or_b64 exec, exec, s[0:1]
	v_cmp_lt_u32_e32 vcc, 63, v0
	v_mov_b32_e32 v11, 0
	v_mov_b32_e32 v13, 0
	s_waitcnt lgkmcnt(0)
	s_barrier
	s_and_saveexec_b64 s[0:1], vcc
	s_cbranch_execz .LBB3_6
; %bb.5:
	v_lshl_add_u32 v7, v7, 2, -4
	ds_read_b32 v13, v7
.LBB3_6:
	s_or_b64 exec, exec, s[0:1]
	s_waitcnt lgkmcnt(0)
	v_add_u32_e32 v7, v13, v9
	v_add_u32_e32 v9, -1, v5
	v_and_b32_e32 v15, 64, v5
	v_cmp_lt_i32_e32 vcc, v9, v15
	v_cndmask_b32_e32 v9, v9, v5, vcc
	v_lshlrev_b32_e32 v9, 2, v9
	ds_bpermute_b32 v7, v9, v7
	v_cmp_eq_u32_e32 vcc, 0, v5
	ds_read_b32 v11, v11 offset:12
	s_waitcnt lgkmcnt(0)
	s_barrier
	v_cndmask_b32_e32 v5, v7, v13, vcc
	v_cmp_ne_u32_e32 vcc, 0, v0
	v_cndmask_b32_e32 v5, 0, v5, vcc
	v_add_u32_e32 v7, v5, v14
	v_add_u32_e32 v9, v7, v16
	;; [unrolled: 1-line block ×3, first 2 shown]
	v_mul_u32_u24_e32 v13, 9, v0
	v_add_u32_e32 v12, v10, v12
	v_lshlrev_b32_e32 v14, 2, v13
	v_add_u32_e32 v6, v12, v6
	v_add_u32_e32 v15, 0x900, v14
	;; [unrolled: 1-line block ×3, first 2 shown]
	ds_write2_b32 v15, v5, v7 offset1:1
	v_add_u32_e32 v5, 0x908, v14
	v_cmp_eq_u32_e32 vcc, 0, v11
	s_mov_b32 s6, 0
	v_add_u32_e32 v2, v8, v2
	v_readfirstlane_b32 s7, v11
	ds_write2_b32 v5, v9, v10 offset1:1
	v_add_u32_e32 v5, 0x910, v14
	s_and_b64 vcc, exec, vcc
	v_add_u32_e32 v4, v2, v4
	ds_write2_b32 v5, v12, v6 offset1:1
	ds_write_b32 v14, v8 offset:2328
	s_waitcnt vmcnt(0)
	ds_write_b64 v13, v[18:19]
	ds_write_b32 v14, v2 offset:2332
	ds_write_b8 v13, v3 offset:8
	ds_write_b32 v14, v4 offset:2336
	s_waitcnt lgkmcnt(0)
	s_barrier
	s_cbranch_vccnz .LBB3_59
; %bb.7:
	s_load_dwordx2 s[0:1], s[4:5], 0x10
	v_mul_u32_u24_e32 v2, 7, v0
	v_mov_b32_e32 v0, 0
	ds_read_b32 v4, v0 offset:6912
	v_mul_lo_u32 v3, v1, 7
	s_waitcnt lgkmcnt(0)
	v_mov_b32_e32 v0, s1
	v_add_co_u32_e32 v5, vcc, s0, v3
	v_addc_co_u32_e32 v6, vcc, 0, v0, vcc
	v_add_u32_e32 v7, 1, v3
	v_add_u32_e32 v8, 2, v3
	;; [unrolled: 1-line block ×6, first 2 shown]
	v_mov_b32_e32 v13, 0x481
	v_mov_b32_e32 v14, 0x900
	;; [unrolled: 1-line block ×5, first 2 shown]
	s_movk_i32 s4, 0x8ff
	s_mov_b32 s5, s7
	s_branch .LBB3_9
.LBB3_8:                                ;   in Loop: Header=BB3_9 Depth=1
	s_or_b64 exec, exec, s[0:1]
	s_addk_i32 s6, 0x700
	s_addk_i32 s5, 0xf900
	s_cmp_lt_u32 s6, s7
	s_cbranch_scc0 .LBB3_59
.LBB3_9:                                ; =>This Inner Loop Header: Depth=1
	v_add_u32_e32 v0, s6, v2
	v_cmp_gt_u32_e32 vcc, v4, v0
	v_cndmask_b32_e32 v18, v16, v17, vcc
	v_lshlrev_b32_e32 v19, 2, v18
	ds_read_b32 v19, v19 offset:2304
	v_cndmask_b32_e64 v1, v13, 0, vcc
	v_cndmask_b32_e32 v20, v14, v15, vcc
	v_or_b32_e32 v21, 1, v18
	s_waitcnt lgkmcnt(0)
	v_cmp_gt_u32_e32 vcc, v19, v0
	v_cndmask_b32_e32 v1, v21, v1, vcc
	v_cndmask_b32_e32 v18, v20, v18, vcc
	v_sub_u32_e32 v19, v18, v1
	v_lshrrev_b16_e32 v20, 15, v19
	v_add_u16_e32 v19, v19, v20
	v_ashrrev_i16_e32 v19, 1, v19
	v_add_u32_sdwa v19, v1, sext(v19) dst_sel:DWORD dst_unused:UNUSED_PAD src0_sel:DWORD src1_sel:WORD_0
	v_min_i32_e32 v19, 0x8ff, v19
	v_lshlrev_b32_e32 v20, 2, v19
	ds_read_b32 v20, v20 offset:2304
	v_add_u32_e32 v21, 1, v19
	s_waitcnt lgkmcnt(0)
	v_cmp_gt_u32_e32 vcc, v20, v0
	v_cndmask_b32_e32 v1, v21, v1, vcc
	v_cndmask_b32_e32 v18, v18, v19, vcc
	v_sub_u32_e32 v19, v18, v1
	v_lshrrev_b16_e32 v20, 15, v19
	v_add_u16_e32 v19, v19, v20
	v_ashrrev_i16_e32 v19, 1, v19
	v_add_u32_sdwa v19, v1, sext(v19) dst_sel:DWORD dst_unused:UNUSED_PAD src0_sel:DWORD src1_sel:WORD_0
	v_min_i32_e32 v19, 0x8ff, v19
	v_lshlrev_b32_e32 v20, 2, v19
	ds_read_b32 v20, v20 offset:2304
	v_add_u32_e32 v21, 1, v19
	s_waitcnt lgkmcnt(0)
	v_cmp_gt_u32_e32 vcc, v20, v0
	v_cndmask_b32_e32 v1, v21, v1, vcc
	v_cndmask_b32_e32 v18, v18, v19, vcc
	v_sub_u32_e32 v19, v18, v1
	v_lshrrev_b16_e32 v20, 15, v19
	v_add_u16_e32 v19, v19, v20
	v_ashrrev_i16_e32 v19, 1, v19
	v_add_u32_sdwa v19, v1, sext(v19) dst_sel:DWORD dst_unused:UNUSED_PAD src0_sel:DWORD src1_sel:WORD_0
	v_min_i32_e32 v19, 0x8ff, v19
	v_lshlrev_b32_e32 v20, 2, v19
	ds_read_b32 v20, v20 offset:2304
	v_add_u32_e32 v21, 1, v19
	s_waitcnt lgkmcnt(0)
	v_cmp_gt_u32_e32 vcc, v20, v0
	v_cndmask_b32_e32 v1, v21, v1, vcc
	v_cndmask_b32_e32 v18, v18, v19, vcc
	v_sub_u32_e32 v19, v18, v1
	v_lshrrev_b16_e32 v20, 15, v19
	v_add_u16_e32 v19, v19, v20
	v_ashrrev_i16_e32 v19, 1, v19
	v_add_u32_sdwa v19, v1, sext(v19) dst_sel:DWORD dst_unused:UNUSED_PAD src0_sel:DWORD src1_sel:WORD_0
	v_min_i32_e32 v19, 0x8ff, v19
	v_lshlrev_b32_e32 v20, 2, v19
	ds_read_b32 v20, v20 offset:2304
	v_add_u32_e32 v21, 1, v19
	s_waitcnt lgkmcnt(0)
	v_cmp_gt_u32_e32 vcc, v20, v0
	v_cndmask_b32_e32 v1, v21, v1, vcc
	v_cndmask_b32_e32 v18, v18, v19, vcc
	v_sub_u32_e32 v19, v18, v1
	v_lshrrev_b16_e32 v20, 15, v19
	v_add_u16_e32 v19, v19, v20
	v_ashrrev_i16_e32 v19, 1, v19
	v_add_u32_sdwa v19, v1, sext(v19) dst_sel:DWORD dst_unused:UNUSED_PAD src0_sel:DWORD src1_sel:WORD_0
	v_min_i32_e32 v19, 0x8ff, v19
	v_lshlrev_b32_e32 v20, 2, v19
	ds_read_b32 v20, v20 offset:2304
	v_add_u32_e32 v21, 1, v19
	s_waitcnt lgkmcnt(0)
	v_cmp_gt_u32_e32 vcc, v20, v0
	v_cndmask_b32_e32 v1, v21, v1, vcc
	v_cndmask_b32_e32 v18, v18, v19, vcc
	v_sub_u32_e32 v19, v18, v1
	v_lshrrev_b16_e32 v20, 15, v19
	v_add_u16_e32 v19, v19, v20
	v_ashrrev_i16_e32 v19, 1, v19
	v_add_u32_sdwa v19, v1, sext(v19) dst_sel:DWORD dst_unused:UNUSED_PAD src0_sel:DWORD src1_sel:WORD_0
	v_min_i32_e32 v19, 0x8ff, v19
	v_lshlrev_b32_e32 v20, 2, v19
	ds_read_b32 v20, v20 offset:2304
	v_add_u32_e32 v21, 1, v19
	s_waitcnt lgkmcnt(0)
	v_cmp_gt_u32_e32 vcc, v20, v0
	v_cndmask_b32_e32 v1, v21, v1, vcc
	v_cndmask_b32_e32 v18, v18, v19, vcc
	v_sub_u32_e32 v19, v18, v1
	v_lshrrev_b16_e32 v20, 15, v19
	v_add_u16_e32 v19, v19, v20
	v_ashrrev_i16_e32 v19, 1, v19
	v_add_u32_sdwa v19, v1, sext(v19) dst_sel:DWORD dst_unused:UNUSED_PAD src0_sel:DWORD src1_sel:WORD_0
	v_min_i32_e32 v19, 0x8ff, v19
	v_lshlrev_b32_e32 v20, 2, v19
	ds_read_b32 v20, v20 offset:2304
	v_add_u32_e32 v21, 1, v19
	s_waitcnt lgkmcnt(0)
	v_cmp_gt_u32_e32 vcc, v20, v0
	v_cndmask_b32_e32 v1, v21, v1, vcc
	v_cndmask_b32_e32 v18, v18, v19, vcc
	v_sub_u32_e32 v19, v18, v1
	v_lshrrev_b32_e32 v20, 31, v19
	v_add_u32_e32 v19, v19, v20
	v_ashrrev_i32_e32 v19, 1, v19
	v_add_u32_e32 v19, v19, v1
	v_min_i32_e32 v19, 0x8ff, v19
	v_lshlrev_b32_e32 v20, 2, v19
	ds_read_b32 v20, v20 offset:2304
	v_add_u32_e32 v21, 1, v19
	s_waitcnt lgkmcnt(0)
	v_cmp_gt_u32_e32 vcc, v20, v0
	v_cndmask_b32_e32 v1, v21, v1, vcc
	v_cndmask_b32_e32 v18, v18, v19, vcc
	v_sub_u32_e32 v19, v18, v1
	v_lshrrev_b32_e32 v20, 31, v19
	v_add_u32_e32 v19, v19, v20
	v_ashrrev_i32_e32 v19, 1, v19
	v_add_u32_e32 v19, v19, v1
	v_min_i32_e32 v19, 0x8ff, v19
	v_lshlrev_b32_e32 v20, 2, v19
	ds_read_b32 v20, v20 offset:2304
	v_add_u32_e32 v21, 1, v19
	;; [unrolled: 13-line block ×4, first 2 shown]
	s_waitcnt lgkmcnt(0)
	v_cmp_gt_u32_e32 vcc, v19, v0
	v_cndmask_b32_e32 v20, v18, v1, vcc
	v_add_u32_e32 v1, -1, v20
	v_cmp_ne_u32_e32 vcc, s4, v1
                                        ; implicit-def: $vgpr19
	s_and_saveexec_b64 s[0:1], vcc
	s_xor_b64 s[0:1], exec, s[0:1]
	s_cbranch_execz .LBB3_11
; %bb.10:                               ;   in Loop: Header=BB3_9 Depth=1
	v_lshlrev_b32_e32 v18, 2, v20
	ds_read_b32 v19, v18 offset:2304
.LBB3_11:                               ;   in Loop: Header=BB3_9 Depth=1
	s_andn2_saveexec_b64 s[0:1], s[0:1]
	s_cbranch_execz .LBB3_13
; %bb.12:                               ;   in Loop: Header=BB3_9 Depth=1
	s_waitcnt lgkmcnt(0)
	v_add_u32_e32 v19, 7, v0
.LBB3_13:                               ;   in Loop: Header=BB3_9 Depth=1
	s_or_b64 exec, exec, s[0:1]
	ds_read_u8 v18, v1
	s_waitcnt lgkmcnt(1)
	v_add_u32_e32 v23, -1, v19
	v_cmp_eq_u32_e32 vcc, v0, v23
	s_waitcnt lgkmcnt(0)
	v_mov_b32_e32 v19, v18
	s_and_saveexec_b64 s[0:1], vcc
	s_cbranch_execz .LBB3_19
; %bb.14:                               ;   in Loop: Header=BB3_9 Depth=1
	v_cmp_ne_u32_e32 vcc, s4, v20
                                        ; implicit-def: $vgpr1
	s_and_saveexec_b64 s[2:3], vcc
	s_xor_b64 s[2:3], exec, s[2:3]
	s_cbranch_execz .LBB3_16
; %bb.15:                               ;   in Loop: Header=BB3_9 Depth=1
	v_lshlrev_b32_e32 v1, 2, v20
	ds_read_b32 v1, v1 offset:2308
.LBB3_16:                               ;   in Loop: Header=BB3_9 Depth=1
	s_andn2_saveexec_b64 s[2:3], s[2:3]
	s_cbranch_execz .LBB3_18
; %bb.17:                               ;   in Loop: Header=BB3_9 Depth=1
	s_waitcnt lgkmcnt(0)
	v_add_u32_e32 v1, 7, v0
.LBB3_18:                               ;   in Loop: Header=BB3_9 Depth=1
	s_or_b64 exec, exec, s[2:3]
	ds_read_u8 v19, v20
	s_waitcnt lgkmcnt(1)
	v_add_u32_e32 v23, -1, v1
	v_mov_b32_e32 v1, v20
.LBB3_19:                               ;   in Loop: Header=BB3_9 Depth=1
	s_or_b64 exec, exec, s[0:1]
	v_add_u32_e32 v20, 1, v0
	v_cmp_eq_u32_e32 vcc, v20, v23
	s_waitcnt lgkmcnt(0)
	v_mov_b32_e32 v20, v19
	s_and_saveexec_b64 s[0:1], vcc
	s_cbranch_execz .LBB3_25
; %bb.20:                               ;   in Loop: Header=BB3_9 Depth=1
	v_add_u32_e32 v21, 1, v1
	v_cmp_ne_u32_e32 vcc, s4, v21
                                        ; implicit-def: $vgpr22
	s_and_saveexec_b64 s[2:3], vcc
	s_xor_b64 s[2:3], exec, s[2:3]
	s_cbranch_execz .LBB3_22
; %bb.21:                               ;   in Loop: Header=BB3_9 Depth=1
	v_lshlrev_b32_e32 v1, 2, v1
	ds_read_b32 v22, v1 offset:2312
.LBB3_22:                               ;   in Loop: Header=BB3_9 Depth=1
	s_andn2_saveexec_b64 s[2:3], s[2:3]
	s_cbranch_execz .LBB3_24
; %bb.23:                               ;   in Loop: Header=BB3_9 Depth=1
	s_waitcnt lgkmcnt(0)
	v_add_u32_e32 v22, 8, v0
.LBB3_24:                               ;   in Loop: Header=BB3_9 Depth=1
	s_or_b64 exec, exec, s[2:3]
	ds_read_u8 v20, v21
	s_waitcnt lgkmcnt(1)
	v_add_u32_e32 v23, -1, v22
	v_mov_b32_e32 v1, v21
.LBB3_25:                               ;   in Loop: Header=BB3_9 Depth=1
	s_or_b64 exec, exec, s[0:1]
	v_add_u32_e32 v21, 2, v0
	v_cmp_eq_u32_e32 vcc, v21, v23
	s_waitcnt lgkmcnt(0)
	v_mov_b32_e32 v21, v20
	s_and_saveexec_b64 s[0:1], vcc
	s_cbranch_execz .LBB3_31
; %bb.26:                               ;   in Loop: Header=BB3_9 Depth=1
	v_add_u32_e32 v22, 1, v1
	v_cmp_ne_u32_e32 vcc, s4, v22
                                        ; implicit-def: $vgpr23
	s_and_saveexec_b64 s[2:3], vcc
	s_xor_b64 s[2:3], exec, s[2:3]
	s_cbranch_execz .LBB3_28
; %bb.27:                               ;   in Loop: Header=BB3_9 Depth=1
	v_lshlrev_b32_e32 v1, 2, v1
	ds_read_b32 v23, v1 offset:2312
.LBB3_28:                               ;   in Loop: Header=BB3_9 Depth=1
	s_andn2_saveexec_b64 s[2:3], s[2:3]
	s_cbranch_execz .LBB3_30
; %bb.29:                               ;   in Loop: Header=BB3_9 Depth=1
	s_waitcnt lgkmcnt(0)
	v_add_u32_e32 v23, 9, v0
.LBB3_30:                               ;   in Loop: Header=BB3_9 Depth=1
	s_or_b64 exec, exec, s[2:3]
	ds_read_u8 v21, v22
	s_waitcnt lgkmcnt(1)
	v_add_u32_e32 v23, -1, v23
	v_mov_b32_e32 v1, v22
.LBB3_31:                               ;   in Loop: Header=BB3_9 Depth=1
	s_or_b64 exec, exec, s[0:1]
	v_add_u32_e32 v22, 3, v0
	v_cmp_eq_u32_e32 vcc, v22, v23
	s_waitcnt lgkmcnt(0)
	v_mov_b32_e32 v22, v21
	s_and_saveexec_b64 s[0:1], vcc
	s_cbranch_execz .LBB3_37
; %bb.32:                               ;   in Loop: Header=BB3_9 Depth=1
	v_add_u32_e32 v24, 1, v1
	v_cmp_ne_u32_e32 vcc, s4, v24
                                        ; implicit-def: $vgpr23
	s_and_saveexec_b64 s[2:3], vcc
	s_xor_b64 s[2:3], exec, s[2:3]
	s_cbranch_execz .LBB3_34
; %bb.33:                               ;   in Loop: Header=BB3_9 Depth=1
	v_lshlrev_b32_e32 v1, 2, v1
	ds_read_b32 v23, v1 offset:2312
.LBB3_34:                               ;   in Loop: Header=BB3_9 Depth=1
	s_andn2_saveexec_b64 s[2:3], s[2:3]
	s_cbranch_execz .LBB3_36
; %bb.35:                               ;   in Loop: Header=BB3_9 Depth=1
	s_waitcnt lgkmcnt(0)
	v_add_u32_e32 v23, 10, v0
.LBB3_36:                               ;   in Loop: Header=BB3_9 Depth=1
	s_or_b64 exec, exec, s[2:3]
	ds_read_u8 v22, v24
	s_waitcnt lgkmcnt(1)
	v_add_u32_e32 v23, -1, v23
	v_mov_b32_e32 v1, v24
.LBB3_37:                               ;   in Loop: Header=BB3_9 Depth=1
	;; [unrolled: 30-line block ×3, first 2 shown]
	s_or_b64 exec, exec, s[0:1]
	v_add_u32_e32 v0, 5, v0
	v_cmp_eq_u32_e32 vcc, v0, v23
	s_waitcnt lgkmcnt(0)
	v_mov_b32_e32 v23, v24
	s_and_saveexec_b64 s[0:1], vcc
	s_cbranch_execz .LBB3_45
; %bb.44:                               ;   in Loop: Header=BB3_9 Depth=1
	ds_read_u8 v23, v1 offset:1
.LBB3_45:                               ;   in Loop: Header=BB3_9 Depth=1
	s_or_b64 exec, exec, s[0:1]
	v_add_co_u32_e32 v0, vcc, s6, v5
	s_min_u32 s2, s5, 0x700
	v_addc_co_u32_e32 v1, vcc, 0, v6, vcc
	v_cmp_gt_u32_e32 vcc, s2, v3
	s_and_saveexec_b64 s[0:1], vcc
	s_cbranch_execnz .LBB3_52
; %bb.46:                               ;   in Loop: Header=BB3_9 Depth=1
	s_or_b64 exec, exec, s[0:1]
	v_cmp_gt_u32_e32 vcc, s2, v7
	s_and_saveexec_b64 s[0:1], vcc
	s_cbranch_execnz .LBB3_53
.LBB3_47:                               ;   in Loop: Header=BB3_9 Depth=1
	s_or_b64 exec, exec, s[0:1]
	v_cmp_gt_u32_e32 vcc, s2, v8
	s_and_saveexec_b64 s[0:1], vcc
	s_cbranch_execnz .LBB3_54
.LBB3_48:                               ;   in Loop: Header=BB3_9 Depth=1
	s_or_b64 exec, exec, s[0:1]
	v_cmp_gt_u32_e32 vcc, s2, v9
	s_and_saveexec_b64 s[0:1], vcc
	s_cbranch_execnz .LBB3_55
.LBB3_49:                               ;   in Loop: Header=BB3_9 Depth=1
	s_or_b64 exec, exec, s[0:1]
	v_cmp_gt_u32_e32 vcc, s2, v10
	s_and_saveexec_b64 s[0:1], vcc
	s_cbranch_execnz .LBB3_56
.LBB3_50:                               ;   in Loop: Header=BB3_9 Depth=1
	s_or_b64 exec, exec, s[0:1]
	v_cmp_gt_u32_e32 vcc, s2, v11
	s_and_saveexec_b64 s[0:1], vcc
	s_cbranch_execnz .LBB3_57
.LBB3_51:                               ;   in Loop: Header=BB3_9 Depth=1
	s_or_b64 exec, exec, s[0:1]
	v_cmp_gt_u32_e32 vcc, s2, v12
	s_and_saveexec_b64 s[0:1], vcc
	s_cbranch_execz .LBB3_8
	s_branch .LBB3_58
.LBB3_52:                               ;   in Loop: Header=BB3_9 Depth=1
	global_store_byte v[0:1], v18, off
	s_or_b64 exec, exec, s[0:1]
	v_cmp_gt_u32_e32 vcc, s2, v7
	s_and_saveexec_b64 s[0:1], vcc
	s_cbranch_execz .LBB3_47
.LBB3_53:                               ;   in Loop: Header=BB3_9 Depth=1
	global_store_byte v[0:1], v19, off offset:1
	s_or_b64 exec, exec, s[0:1]
	v_cmp_gt_u32_e32 vcc, s2, v8
	s_and_saveexec_b64 s[0:1], vcc
	s_cbranch_execz .LBB3_48
.LBB3_54:                               ;   in Loop: Header=BB3_9 Depth=1
	global_store_byte v[0:1], v20, off offset:2
	s_or_b64 exec, exec, s[0:1]
	v_cmp_gt_u32_e32 vcc, s2, v9
	s_and_saveexec_b64 s[0:1], vcc
	s_cbranch_execz .LBB3_49
.LBB3_55:                               ;   in Loop: Header=BB3_9 Depth=1
	global_store_byte v[0:1], v21, off offset:3
	s_or_b64 exec, exec, s[0:1]
	v_cmp_gt_u32_e32 vcc, s2, v10
	s_and_saveexec_b64 s[0:1], vcc
	s_cbranch_execz .LBB3_50
.LBB3_56:                               ;   in Loop: Header=BB3_9 Depth=1
	global_store_byte v[0:1], v22, off offset:4
	s_or_b64 exec, exec, s[0:1]
	v_cmp_gt_u32_e32 vcc, s2, v11
	s_and_saveexec_b64 s[0:1], vcc
	s_cbranch_execz .LBB3_51
.LBB3_57:                               ;   in Loop: Header=BB3_9 Depth=1
	global_store_byte v[0:1], v24, off offset:5
	s_or_b64 exec, exec, s[0:1]
	v_cmp_gt_u32_e32 vcc, s2, v12
	s_and_saveexec_b64 s[0:1], vcc
	s_cbranch_execz .LBB3_8
.LBB3_58:                               ;   in Loop: Header=BB3_9 Depth=1
	s_waitcnt lgkmcnt(0)
	global_store_byte v[0:1], v23, off offset:6
	s_branch .LBB3_8
.LBB3_59:
	s_endpgm
	.section	.rodata,"a",@progbits
	.p2align	6, 0x0
	.amdhsa_kernel _Z30block_run_length_decode_kernelIcxLj256ELj9ELj7EEvPKT_PKT0_PS0_
		.amdhsa_group_segment_fixed_size 11520
		.amdhsa_private_segment_fixed_size 0
		.amdhsa_kernarg_size 24
		.amdhsa_user_sgpr_count 6
		.amdhsa_user_sgpr_private_segment_buffer 1
		.amdhsa_user_sgpr_dispatch_ptr 0
		.amdhsa_user_sgpr_queue_ptr 0
		.amdhsa_user_sgpr_kernarg_segment_ptr 1
		.amdhsa_user_sgpr_dispatch_id 0
		.amdhsa_user_sgpr_flat_scratch_init 0
		.amdhsa_user_sgpr_kernarg_preload_length 0
		.amdhsa_user_sgpr_kernarg_preload_offset 0
		.amdhsa_user_sgpr_private_segment_size 0
		.amdhsa_uses_dynamic_stack 0
		.amdhsa_system_sgpr_private_segment_wavefront_offset 0
		.amdhsa_system_sgpr_workgroup_id_x 1
		.amdhsa_system_sgpr_workgroup_id_y 0
		.amdhsa_system_sgpr_workgroup_id_z 0
		.amdhsa_system_sgpr_workgroup_info 0
		.amdhsa_system_vgpr_workitem_id 0
		.amdhsa_next_free_vgpr 26
		.amdhsa_next_free_sgpr 8
		.amdhsa_accum_offset 28
		.amdhsa_reserve_vcc 1
		.amdhsa_reserve_flat_scratch 0
		.amdhsa_float_round_mode_32 0
		.amdhsa_float_round_mode_16_64 0
		.amdhsa_float_denorm_mode_32 3
		.amdhsa_float_denorm_mode_16_64 3
		.amdhsa_dx10_clamp 1
		.amdhsa_ieee_mode 1
		.amdhsa_fp16_overflow 0
		.amdhsa_tg_split 0
		.amdhsa_exception_fp_ieee_invalid_op 0
		.amdhsa_exception_fp_denorm_src 0
		.amdhsa_exception_fp_ieee_div_zero 0
		.amdhsa_exception_fp_ieee_overflow 0
		.amdhsa_exception_fp_ieee_underflow 0
		.amdhsa_exception_fp_ieee_inexact 0
		.amdhsa_exception_int_div_zero 0
	.end_amdhsa_kernel
	.section	.text._Z30block_run_length_decode_kernelIcxLj256ELj9ELj7EEvPKT_PKT0_PS0_,"axG",@progbits,_Z30block_run_length_decode_kernelIcxLj256ELj9ELj7EEvPKT_PKT0_PS0_,comdat
.Lfunc_end3:
	.size	_Z30block_run_length_decode_kernelIcxLj256ELj9ELj7EEvPKT_PKT0_PS0_, .Lfunc_end3-_Z30block_run_length_decode_kernelIcxLj256ELj9ELj7EEvPKT_PKT0_PS0_
                                        ; -- End function
	.section	.AMDGPU.csdata,"",@progbits
; Kernel info:
; codeLenInByte = 2496
; NumSgprs: 12
; NumVgprs: 26
; NumAgprs: 0
; TotalNumVgprs: 26
; ScratchSize: 0
; MemoryBound: 0
; FloatMode: 240
; IeeeMode: 1
; LDSByteSize: 11520 bytes/workgroup (compile time only)
; SGPRBlocks: 1
; VGPRBlocks: 3
; NumSGPRsForWavesPerEU: 12
; NumVGPRsForWavesPerEU: 26
; AccumOffset: 28
; Occupancy: 5
; WaveLimiterHint : 0
; COMPUTE_PGM_RSRC2:SCRATCH_EN: 0
; COMPUTE_PGM_RSRC2:USER_SGPR: 6
; COMPUTE_PGM_RSRC2:TRAP_HANDLER: 0
; COMPUTE_PGM_RSRC2:TGID_X_EN: 1
; COMPUTE_PGM_RSRC2:TGID_Y_EN: 0
; COMPUTE_PGM_RSRC2:TGID_Z_EN: 0
; COMPUTE_PGM_RSRC2:TIDIG_COMP_CNT: 0
; COMPUTE_PGM_RSRC3_GFX90A:ACCUM_OFFSET: 6
; COMPUTE_PGM_RSRC3_GFX90A:TG_SPLIT: 0
	.section	.text._Z30block_run_length_decode_kernelIdcLj256ELj9ELj7EEvPKT_PKT0_PS0_,"axG",@progbits,_Z30block_run_length_decode_kernelIdcLj256ELj9ELj7EEvPKT_PKT0_PS0_,comdat
	.protected	_Z30block_run_length_decode_kernelIdcLj256ELj9ELj7EEvPKT_PKT0_PS0_ ; -- Begin function _Z30block_run_length_decode_kernelIdcLj256ELj9ELj7EEvPKT_PKT0_PS0_
	.globl	_Z30block_run_length_decode_kernelIdcLj256ELj9ELj7EEvPKT_PKT0_PS0_
	.p2align	8
	.type	_Z30block_run_length_decode_kernelIdcLj256ELj9ELj7EEvPKT_PKT0_PS0_,@function
_Z30block_run_length_decode_kernelIdcLj256ELj9ELj7EEvPKT_PKT0_PS0_: ; @_Z30block_run_length_decode_kernelIdcLj256ELj9ELj7EEvPKT_PKT0_PS0_
; %bb.0:
	s_load_dwordx4 s[0:3], s[4:5], 0x0
	v_lshl_or_b32 v20, s6, 8, v0
	v_lshl_add_u32 v2, v20, 3, v20
	v_mov_b32_e32 v3, 0
	v_or_b32_e32 v32, 63, v0
	s_waitcnt lgkmcnt(0)
	global_load_dwordx2 v[28:29], v2, s[2:3]
	global_load_sbyte v31, v2, s[2:3] offset:8
	v_lshlrev_b64 v[2:3], 3, v[2:3]
	v_mov_b32_e32 v1, s1
	v_add_co_u32_e32 v22, vcc, s0, v2
	v_addc_co_u32_e32 v23, vcc, v1, v3, vcc
	global_load_dwordx4 v[2:5], v[22:23], off offset:48
	global_load_dwordx4 v[6:9], v[22:23], off offset:32
	;; [unrolled: 1-line block ×3, first 2 shown]
	global_load_dwordx4 v[14:17], v[22:23], off
	global_load_dwordx2 v[18:19], v[22:23], off offset:64
	v_mbcnt_lo_u32_b32 v1, -1, 0
	v_mbcnt_hi_u32_b32 v1, -1, v1
	v_and_b32_e32 v33, 15, v1
	v_cmp_ne_u32_e32 vcc, 0, v33
	v_bfe_i32 v34, v1, 4, 1
	v_lshrrev_b32_e32 v30, 6, v0
	s_waitcnt vmcnt(6)
	v_bfe_i32 v25, v28, 0, 8
	v_bfe_i32 v26, v28, 8, 8
	;; [unrolled: 1-line block ×3, first 2 shown]
	v_ashrrev_i32_e32 v28, 24, v28
	v_bfe_i32 v21, v29, 0, 8
	v_bfe_i32 v22, v29, 8, 8
	;; [unrolled: 1-line block ×3, first 2 shown]
	v_ashrrev_i32_e32 v24, 24, v29
	v_add3_u32 v29, v26, v25, v27
	v_add3_u32 v29, v29, v28, v21
	;; [unrolled: 1-line block ×3, first 2 shown]
	s_waitcnt vmcnt(5)
	v_add3_u32 v29, v29, v24, v31
	s_nop 1
	v_mov_b32_dpp v31, v29 row_shr:1 row_mask:0xf bank_mask:0xf
	v_cndmask_b32_e32 v31, 0, v31, vcc
	v_add_u32_e32 v29, v31, v29
	v_cmp_lt_u32_e32 vcc, 1, v33
	s_nop 0
	v_mov_b32_dpp v31, v29 row_shr:2 row_mask:0xf bank_mask:0xf
	v_cndmask_b32_e32 v31, 0, v31, vcc
	v_add_u32_e32 v29, v29, v31
	v_cmp_lt_u32_e32 vcc, 3, v33
	;; [unrolled: 5-line block ×4, first 2 shown]
	s_nop 0
	v_mov_b32_dpp v31, v29 row_bcast:15 row_mask:0xf bank_mask:0xf
	v_and_b32_e32 v31, v34, v31
	v_add_u32_e32 v29, v29, v31
	s_nop 1
	v_mov_b32_dpp v31, v29 row_bcast:31 row_mask:0xf bank_mask:0xf
	v_cndmask_b32_e32 v31, 0, v31, vcc
	v_add_u32_e32 v29, v29, v31
	v_cmp_eq_u32_e32 vcc, v32, v0
	s_and_saveexec_b64 s[0:1], vcc
	s_cbranch_execz .LBB4_2
; %bb.1:
	v_lshlrev_b32_e32 v31, 2, v30
	ds_write_b32 v31, v29
.LBB4_2:
	s_or_b64 exec, exec, s[0:1]
	v_cmp_gt_u32_e32 vcc, 4, v0
	s_waitcnt lgkmcnt(0)
	s_barrier
	s_and_saveexec_b64 s[0:1], vcc
	s_cbranch_execz .LBB4_4
; %bb.3:
	v_lshlrev_b32_e32 v31, 2, v0
	ds_read_b32 v32, v31
	v_and_b32_e32 v33, 3, v1
	v_cmp_ne_u32_e32 vcc, 0, v33
	s_waitcnt lgkmcnt(0)
	v_mov_b32_dpp v34, v32 row_shr:1 row_mask:0xf bank_mask:0xf
	v_cndmask_b32_e32 v34, 0, v34, vcc
	v_add_u32_e32 v32, v34, v32
	v_cmp_lt_u32_e32 vcc, 1, v33
	s_nop 0
	v_mov_b32_dpp v34, v32 row_shr:2 row_mask:0xf bank_mask:0xf
	v_cndmask_b32_e32 v33, 0, v34, vcc
	v_add_u32_e32 v32, v32, v33
	ds_write_b32 v31, v32
.LBB4_4:
	s_or_b64 exec, exec, s[0:1]
	v_cmp_lt_u32_e32 vcc, 63, v0
	v_mov_b32_e32 v31, 0
	v_mov_b32_e32 v32, 0
	s_waitcnt lgkmcnt(0)
	s_barrier
	s_and_saveexec_b64 s[0:1], vcc
	s_cbranch_execz .LBB4_6
; %bb.5:
	v_lshl_add_u32 v30, v30, 2, -4
	ds_read_b32 v32, v30
.LBB4_6:
	s_or_b64 exec, exec, s[0:1]
	v_add_u32_e32 v30, -1, v1
	v_and_b32_e32 v33, 64, v1
	v_cmp_lt_i32_e32 vcc, v30, v33
	v_cndmask_b32_e32 v30, v30, v1, vcc
	s_waitcnt lgkmcnt(0)
	v_add_u32_e32 v29, v32, v29
	v_lshlrev_b32_e32 v30, 2, v30
	ds_bpermute_b32 v29, v30, v29
	v_cmp_eq_u32_e32 vcc, 0, v1
	v_mul_u32_u24_e32 v30, 9, v0
	s_mov_b32 s1, 0
	s_waitcnt lgkmcnt(0)
	v_cndmask_b32_e32 v1, v29, v32, vcc
	v_cmp_ne_u32_e32 vcc, 0, v0
	v_cndmask_b32_e32 v1, 0, v1, vcc
	v_add_u32_e32 v25, v1, v25
	ds_read_b32 v29, v31 offset:12
	v_add_u32_e32 v26, v25, v26
	v_add_u32_e32 v27, v26, v27
	;; [unrolled: 1-line block ×5, first 2 shown]
	v_lshlrev_b32_e32 v31, 3, v30
	s_waitcnt lgkmcnt(0)
	v_cmp_eq_u32_e32 vcc, 0, v29
	v_add_u32_e32 v23, v22, v23
	v_readfirstlane_b32 s6, v29
	s_barrier
	s_waitcnt vmcnt(1)
	ds_write_b64 v31, v[14:15]
	v_lshlrev_b32_e32 v14, 2, v30
	s_and_b64 vcc, exec, vcc
	v_add_u32_e32 v24, v23, v24
	ds_write_b32 v14, v1 offset:18432
	ds_write_b64 v31, v[16:17] offset:8
	ds_write_b32 v14, v25 offset:18436
	ds_write_b64 v31, v[10:11] offset:16
	;; [unrolled: 2-line block ×7, first 2 shown]
	ds_write_b32 v14, v23 offset:18460
	s_waitcnt vmcnt(0)
	ds_write_b64 v31, v[18:19] offset:64
	ds_write_b32 v14, v24 offset:18464
	s_waitcnt lgkmcnt(0)
	s_barrier
	s_cbranch_vccnz .LBB4_59
; %bb.7:
	s_load_dwordx2 s[2:3], s[4:5], 0x10
	v_mov_b32_e32 v1, 0
	ds_read_b32 v19, v1 offset:23040
	v_mul_u32_u24_e32 v18, 7, v0
	v_mul_lo_u32 v0, v20, 7
	v_lshlrev_b64 v[2:3], 3, v[0:1]
	s_waitcnt lgkmcnt(0)
	v_mov_b32_e32 v4, s3
	v_add_co_u32_e32 v1, vcc, s2, v2
	v_addc_co_u32_e32 v20, vcc, v4, v3, vcc
	v_add_u32_e32 v21, 1, v0
	v_add_u32_e32 v22, 2, v0
	;; [unrolled: 1-line block ×6, first 2 shown]
	v_mov_b32_e32 v27, 0x481
	v_mov_b32_e32 v28, 0x900
	;; [unrolled: 1-line block ×5, first 2 shown]
	s_movk_i32 s7, 0x8ff
	s_mov_b32 s8, s6
	s_mov_b32 s0, s1
	s_branch .LBB4_9
.LBB4_8:                                ;   in Loop: Header=BB4_9 Depth=1
	s_or_b64 exec, exec, s[2:3]
	s_addk_i32 s0, 0x700
	s_addk_i32 s8, 0xf900
	s_cmp_lt_u32 s0, s6
	s_cbranch_scc0 .LBB4_59
.LBB4_9:                                ; =>This Inner Loop Header: Depth=1
	s_waitcnt lgkmcnt(0)
	v_add_u32_e32 v14, s0, v18
	v_cmp_gt_u32_e32 vcc, v19, v14
	v_cndmask_b32_e32 v3, v30, v31, vcc
	v_lshlrev_b32_e32 v4, 2, v3
	ds_read_b32 v4, v4 offset:18432
	v_cndmask_b32_e64 v2, v27, 0, vcc
	v_cndmask_b32_e32 v5, v28, v29, vcc
	v_or_b32_e32 v6, 1, v3
	s_waitcnt lgkmcnt(0)
	v_cmp_gt_u32_e32 vcc, v4, v14
	v_cndmask_b32_e32 v2, v6, v2, vcc
	v_cndmask_b32_e32 v3, v5, v3, vcc
	v_sub_u32_e32 v4, v3, v2
	v_lshrrev_b16_e32 v5, 15, v4
	v_add_u16_e32 v4, v4, v5
	v_ashrrev_i16_e32 v4, 1, v4
	v_add_u32_sdwa v4, v2, sext(v4) dst_sel:DWORD dst_unused:UNUSED_PAD src0_sel:DWORD src1_sel:WORD_0
	v_min_i32_e32 v4, 0x8ff, v4
	v_lshlrev_b32_e32 v5, 2, v4
	ds_read_b32 v5, v5 offset:18432
	v_add_u32_e32 v6, 1, v4
	s_waitcnt lgkmcnt(0)
	v_cmp_gt_u32_e32 vcc, v5, v14
	v_cndmask_b32_e32 v2, v6, v2, vcc
	v_cndmask_b32_e32 v3, v3, v4, vcc
	v_sub_u32_e32 v4, v3, v2
	v_lshrrev_b16_e32 v5, 15, v4
	v_add_u16_e32 v4, v4, v5
	v_ashrrev_i16_e32 v4, 1, v4
	v_add_u32_sdwa v4, v2, sext(v4) dst_sel:DWORD dst_unused:UNUSED_PAD src0_sel:DWORD src1_sel:WORD_0
	v_min_i32_e32 v4, 0x8ff, v4
	v_lshlrev_b32_e32 v5, 2, v4
	ds_read_b32 v5, v5 offset:18432
	v_add_u32_e32 v6, 1, v4
	;; [unrolled: 13-line block ×7, first 2 shown]
	s_waitcnt lgkmcnt(0)
	v_cmp_gt_u32_e32 vcc, v5, v14
	v_cndmask_b32_e32 v2, v6, v2, vcc
	v_cndmask_b32_e32 v3, v3, v4, vcc
	v_sub_u32_e32 v4, v3, v2
	v_lshrrev_b32_e32 v5, 31, v4
	v_add_u32_e32 v4, v4, v5
	v_ashrrev_i32_e32 v4, 1, v4
	v_add_u32_e32 v4, v4, v2
	v_min_i32_e32 v4, 0x8ff, v4
	v_lshlrev_b32_e32 v5, 2, v4
	ds_read_b32 v5, v5 offset:18432
	v_add_u32_e32 v6, 1, v4
	s_waitcnt lgkmcnt(0)
	v_cmp_gt_u32_e32 vcc, v5, v14
	v_cndmask_b32_e32 v2, v6, v2, vcc
	v_cndmask_b32_e32 v3, v3, v4, vcc
	v_sub_u32_e32 v4, v3, v2
	v_lshrrev_b32_e32 v5, 31, v4
	v_add_u32_e32 v4, v4, v5
	v_ashrrev_i32_e32 v4, 1, v4
	v_add_u32_e32 v4, v4, v2
	v_min_i32_e32 v4, 0x8ff, v4
	v_lshlrev_b32_e32 v5, 2, v4
	ds_read_b32 v5, v5 offset:18432
	v_add_u32_e32 v6, 1, v4
	;; [unrolled: 13-line block ×4, first 2 shown]
	s_waitcnt lgkmcnt(0)
	v_cmp_gt_u32_e32 vcc, v4, v14
	v_cndmask_b32_e32 v6, v3, v2, vcc
	v_add_u32_e32 v16, -1, v6
	v_cmp_ne_u32_e32 vcc, s7, v16
                                        ; implicit-def: $vgpr4
	s_and_saveexec_b64 s[2:3], vcc
	s_xor_b64 s[2:3], exec, s[2:3]
	s_cbranch_execz .LBB4_11
; %bb.10:                               ;   in Loop: Header=BB4_9 Depth=1
	v_lshlrev_b32_e32 v2, 2, v6
	ds_read_b32 v4, v2 offset:18432
.LBB4_11:                               ;   in Loop: Header=BB4_9 Depth=1
	s_andn2_saveexec_b64 s[2:3], s[2:3]
	s_cbranch_execz .LBB4_13
; %bb.12:                               ;   in Loop: Header=BB4_9 Depth=1
	s_waitcnt lgkmcnt(0)
	v_add_u32_e32 v4, 7, v14
.LBB4_13:                               ;   in Loop: Header=BB4_9 Depth=1
	s_or_b64 exec, exec, s[2:3]
	v_lshlrev_b32_e32 v2, 3, v16
	ds_read_b64 v[2:3], v2
	s_waitcnt lgkmcnt(1)
	v_add_u32_e32 v15, -1, v4
	v_cmp_eq_u32_e32 vcc, v14, v15
	s_waitcnt lgkmcnt(0)
	v_pk_mov_b32 v[4:5], v[2:3], v[2:3] op_sel:[0,1]
	s_and_saveexec_b64 s[2:3], vcc
	s_cbranch_execz .LBB4_19
; %bb.14:                               ;   in Loop: Header=BB4_9 Depth=1
	v_cmp_ne_u32_e32 vcc, s7, v6
                                        ; implicit-def: $vgpr7
	s_and_saveexec_b64 s[4:5], vcc
	s_xor_b64 s[4:5], exec, s[4:5]
	s_cbranch_execz .LBB4_16
; %bb.15:                               ;   in Loop: Header=BB4_9 Depth=1
	v_lshlrev_b32_e32 v4, 2, v6
	ds_read_b32 v7, v4 offset:18436
.LBB4_16:                               ;   in Loop: Header=BB4_9 Depth=1
	s_andn2_saveexec_b64 s[4:5], s[4:5]
	s_cbranch_execz .LBB4_18
; %bb.17:                               ;   in Loop: Header=BB4_9 Depth=1
	s_waitcnt lgkmcnt(0)
	v_add_u32_e32 v7, 7, v14
.LBB4_18:                               ;   in Loop: Header=BB4_9 Depth=1
	s_or_b64 exec, exec, s[4:5]
	v_lshlrev_b32_e32 v4, 3, v6
	ds_read_b64 v[4:5], v4
	s_waitcnt lgkmcnt(1)
	v_add_u32_e32 v15, -1, v7
	v_mov_b32_e32 v16, v6
.LBB4_19:                               ;   in Loop: Header=BB4_9 Depth=1
	s_or_b64 exec, exec, s[2:3]
	v_add_u32_e32 v6, 1, v14
	v_cmp_eq_u32_e32 vcc, v6, v15
	s_waitcnt lgkmcnt(0)
	v_pk_mov_b32 v[6:7], v[4:5], v[4:5] op_sel:[0,1]
	s_and_saveexec_b64 s[2:3], vcc
	s_cbranch_execz .LBB4_25
; %bb.20:                               ;   in Loop: Header=BB4_9 Depth=1
	v_add_u32_e32 v8, 1, v16
	v_cmp_ne_u32_e32 vcc, s7, v8
                                        ; implicit-def: $vgpr9
	s_and_saveexec_b64 s[4:5], vcc
	s_xor_b64 s[4:5], exec, s[4:5]
	s_cbranch_execz .LBB4_22
; %bb.21:                               ;   in Loop: Header=BB4_9 Depth=1
	v_lshlrev_b32_e32 v6, 2, v16
	ds_read_b32 v9, v6 offset:18440
.LBB4_22:                               ;   in Loop: Header=BB4_9 Depth=1
	s_andn2_saveexec_b64 s[4:5], s[4:5]
	s_cbranch_execz .LBB4_24
; %bb.23:                               ;   in Loop: Header=BB4_9 Depth=1
	s_waitcnt lgkmcnt(0)
	v_add_u32_e32 v9, 8, v14
.LBB4_24:                               ;   in Loop: Header=BB4_9 Depth=1
	s_or_b64 exec, exec, s[4:5]
	v_lshlrev_b32_e32 v6, 3, v8
	ds_read_b64 v[6:7], v6
	s_waitcnt lgkmcnt(1)
	v_add_u32_e32 v15, -1, v9
	v_mov_b32_e32 v16, v8
.LBB4_25:                               ;   in Loop: Header=BB4_9 Depth=1
	s_or_b64 exec, exec, s[2:3]
	v_add_u32_e32 v8, 2, v14
	v_cmp_eq_u32_e32 vcc, v8, v15
	s_waitcnt lgkmcnt(0)
	v_pk_mov_b32 v[8:9], v[6:7], v[6:7] op_sel:[0,1]
	s_and_saveexec_b64 s[2:3], vcc
	s_cbranch_execz .LBB4_31
; %bb.26:                               ;   in Loop: Header=BB4_9 Depth=1
	v_add_u32_e32 v10, 1, v16
	v_cmp_ne_u32_e32 vcc, s7, v10
                                        ; implicit-def: $vgpr11
	s_and_saveexec_b64 s[4:5], vcc
	s_xor_b64 s[4:5], exec, s[4:5]
	s_cbranch_execz .LBB4_28
; %bb.27:                               ;   in Loop: Header=BB4_9 Depth=1
	v_lshlrev_b32_e32 v8, 2, v16
	ds_read_b32 v11, v8 offset:18440
.LBB4_28:                               ;   in Loop: Header=BB4_9 Depth=1
	s_andn2_saveexec_b64 s[4:5], s[4:5]
	s_cbranch_execz .LBB4_30
; %bb.29:                               ;   in Loop: Header=BB4_9 Depth=1
	s_waitcnt lgkmcnt(0)
	v_add_u32_e32 v11, 9, v14
.LBB4_30:                               ;   in Loop: Header=BB4_9 Depth=1
	s_or_b64 exec, exec, s[4:5]
	v_lshlrev_b32_e32 v8, 3, v10
	ds_read_b64 v[8:9], v8
	s_waitcnt lgkmcnt(1)
	v_add_u32_e32 v15, -1, v11
	v_mov_b32_e32 v16, v10
.LBB4_31:                               ;   in Loop: Header=BB4_9 Depth=1
	s_or_b64 exec, exec, s[2:3]
	v_add_u32_e32 v10, 3, v14
	v_cmp_eq_u32_e32 vcc, v10, v15
	s_waitcnt lgkmcnt(0)
	v_pk_mov_b32 v[10:11], v[8:9], v[8:9] op_sel:[0,1]
	s_and_saveexec_b64 s[2:3], vcc
	s_cbranch_execz .LBB4_37
; %bb.32:                               ;   in Loop: Header=BB4_9 Depth=1
	v_add_u32_e32 v12, 1, v16
	v_cmp_ne_u32_e32 vcc, s7, v12
                                        ; implicit-def: $vgpr13
	s_and_saveexec_b64 s[4:5], vcc
	s_xor_b64 s[4:5], exec, s[4:5]
	s_cbranch_execz .LBB4_34
; %bb.33:                               ;   in Loop: Header=BB4_9 Depth=1
	v_lshlrev_b32_e32 v10, 2, v16
	ds_read_b32 v13, v10 offset:18440
.LBB4_34:                               ;   in Loop: Header=BB4_9 Depth=1
	s_andn2_saveexec_b64 s[4:5], s[4:5]
	s_cbranch_execz .LBB4_36
; %bb.35:                               ;   in Loop: Header=BB4_9 Depth=1
	s_waitcnt lgkmcnt(0)
	v_add_u32_e32 v13, 10, v14
.LBB4_36:                               ;   in Loop: Header=BB4_9 Depth=1
	s_or_b64 exec, exec, s[4:5]
	v_lshlrev_b32_e32 v10, 3, v12
	ds_read_b64 v[10:11], v10
	s_waitcnt lgkmcnt(1)
	v_add_u32_e32 v15, -1, v13
	v_mov_b32_e32 v16, v12
.LBB4_37:                               ;   in Loop: Header=BB4_9 Depth=1
	s_or_b64 exec, exec, s[2:3]
	v_add_u32_e32 v12, 4, v14
	v_cmp_eq_u32_e32 vcc, v12, v15
	s_waitcnt lgkmcnt(0)
	v_pk_mov_b32 v[12:13], v[10:11], v[10:11] op_sel:[0,1]
	s_and_saveexec_b64 s[2:3], vcc
	s_cbranch_execz .LBB4_43
; %bb.38:                               ;   in Loop: Header=BB4_9 Depth=1
	v_add_u32_e32 v17, 1, v16
	v_cmp_ne_u32_e32 vcc, s7, v17
                                        ; implicit-def: $vgpr15
	s_and_saveexec_b64 s[4:5], vcc
	s_xor_b64 s[4:5], exec, s[4:5]
	s_cbranch_execz .LBB4_40
; %bb.39:                               ;   in Loop: Header=BB4_9 Depth=1
	v_lshlrev_b32_e32 v12, 2, v16
	ds_read_b32 v15, v12 offset:18440
.LBB4_40:                               ;   in Loop: Header=BB4_9 Depth=1
	s_andn2_saveexec_b64 s[4:5], s[4:5]
	s_cbranch_execz .LBB4_42
; %bb.41:                               ;   in Loop: Header=BB4_9 Depth=1
	s_waitcnt lgkmcnt(0)
	v_add_u32_e32 v15, 11, v14
.LBB4_42:                               ;   in Loop: Header=BB4_9 Depth=1
	s_or_b64 exec, exec, s[4:5]
	v_lshlrev_b32_e32 v12, 3, v17
	ds_read_b64 v[12:13], v12
	s_waitcnt lgkmcnt(1)
	v_add_u32_e32 v15, -1, v15
	v_mov_b32_e32 v16, v17
.LBB4_43:                               ;   in Loop: Header=BB4_9 Depth=1
	s_or_b64 exec, exec, s[2:3]
	v_add_u32_e32 v14, 5, v14
	v_cmp_eq_u32_e32 vcc, v14, v15
	s_waitcnt lgkmcnt(0)
	v_pk_mov_b32 v[14:15], v[12:13], v[12:13] op_sel:[0,1]
	s_and_saveexec_b64 s[2:3], vcc
	s_cbranch_execz .LBB4_45
; %bb.44:                               ;   in Loop: Header=BB4_9 Depth=1
	v_lshlrev_b32_e32 v14, 3, v16
	ds_read_b64 v[14:15], v14 offset:8
.LBB4_45:                               ;   in Loop: Header=BB4_9 Depth=1
	s_or_b64 exec, exec, s[2:3]
	s_lshl_b64 s[2:3], s[0:1], 3
	v_mov_b32_e32 v17, s3
	v_add_co_u32_e32 v16, vcc, s2, v1
	s_min_u32 s4, s8, 0x700
	v_addc_co_u32_e32 v17, vcc, v20, v17, vcc
	v_cmp_gt_u32_e32 vcc, s4, v0
	s_and_saveexec_b64 s[2:3], vcc
	s_cbranch_execnz .LBB4_52
; %bb.46:                               ;   in Loop: Header=BB4_9 Depth=1
	s_or_b64 exec, exec, s[2:3]
	v_cmp_gt_u32_e32 vcc, s4, v21
	s_and_saveexec_b64 s[2:3], vcc
	s_cbranch_execnz .LBB4_53
.LBB4_47:                               ;   in Loop: Header=BB4_9 Depth=1
	s_or_b64 exec, exec, s[2:3]
	v_cmp_gt_u32_e32 vcc, s4, v22
	s_and_saveexec_b64 s[2:3], vcc
	s_cbranch_execnz .LBB4_54
.LBB4_48:                               ;   in Loop: Header=BB4_9 Depth=1
	s_or_b64 exec, exec, s[2:3]
	v_cmp_gt_u32_e32 vcc, s4, v23
	s_and_saveexec_b64 s[2:3], vcc
	s_cbranch_execnz .LBB4_55
.LBB4_49:                               ;   in Loop: Header=BB4_9 Depth=1
	s_or_b64 exec, exec, s[2:3]
	v_cmp_gt_u32_e32 vcc, s4, v24
	s_and_saveexec_b64 s[2:3], vcc
	s_cbranch_execnz .LBB4_56
.LBB4_50:                               ;   in Loop: Header=BB4_9 Depth=1
	s_or_b64 exec, exec, s[2:3]
	v_cmp_gt_u32_e32 vcc, s4, v25
	s_and_saveexec_b64 s[2:3], vcc
	s_cbranch_execnz .LBB4_57
.LBB4_51:                               ;   in Loop: Header=BB4_9 Depth=1
	s_or_b64 exec, exec, s[2:3]
	v_cmp_gt_u32_e32 vcc, s4, v26
	s_and_saveexec_b64 s[2:3], vcc
	s_cbranch_execz .LBB4_8
	s_branch .LBB4_58
.LBB4_52:                               ;   in Loop: Header=BB4_9 Depth=1
	global_store_dwordx2 v[16:17], v[2:3], off
	s_or_b64 exec, exec, s[2:3]
	v_cmp_gt_u32_e32 vcc, s4, v21
	s_and_saveexec_b64 s[2:3], vcc
	s_cbranch_execz .LBB4_47
.LBB4_53:                               ;   in Loop: Header=BB4_9 Depth=1
	global_store_dwordx2 v[16:17], v[4:5], off offset:8
	s_or_b64 exec, exec, s[2:3]
	v_cmp_gt_u32_e32 vcc, s4, v22
	s_and_saveexec_b64 s[2:3], vcc
	s_cbranch_execz .LBB4_48
.LBB4_54:                               ;   in Loop: Header=BB4_9 Depth=1
	global_store_dwordx2 v[16:17], v[6:7], off offset:16
	s_or_b64 exec, exec, s[2:3]
	v_cmp_gt_u32_e32 vcc, s4, v23
	s_and_saveexec_b64 s[2:3], vcc
	s_cbranch_execz .LBB4_49
.LBB4_55:                               ;   in Loop: Header=BB4_9 Depth=1
	global_store_dwordx2 v[16:17], v[8:9], off offset:24
	s_or_b64 exec, exec, s[2:3]
	v_cmp_gt_u32_e32 vcc, s4, v24
	s_and_saveexec_b64 s[2:3], vcc
	s_cbranch_execz .LBB4_50
.LBB4_56:                               ;   in Loop: Header=BB4_9 Depth=1
	global_store_dwordx2 v[16:17], v[10:11], off offset:32
	s_or_b64 exec, exec, s[2:3]
	v_cmp_gt_u32_e32 vcc, s4, v25
	s_and_saveexec_b64 s[2:3], vcc
	s_cbranch_execz .LBB4_51
.LBB4_57:                               ;   in Loop: Header=BB4_9 Depth=1
	global_store_dwordx2 v[16:17], v[12:13], off offset:40
	s_or_b64 exec, exec, s[2:3]
	v_cmp_gt_u32_e32 vcc, s4, v26
	s_and_saveexec_b64 s[2:3], vcc
	s_cbranch_execz .LBB4_8
.LBB4_58:                               ;   in Loop: Header=BB4_9 Depth=1
	s_waitcnt lgkmcnt(0)
	global_store_dwordx2 v[16:17], v[14:15], off offset:48
	s_branch .LBB4_8
.LBB4_59:
	s_endpgm
	.section	.rodata,"a",@progbits
	.p2align	6, 0x0
	.amdhsa_kernel _Z30block_run_length_decode_kernelIdcLj256ELj9ELj7EEvPKT_PKT0_PS0_
		.amdhsa_group_segment_fixed_size 27648
		.amdhsa_private_segment_fixed_size 0
		.amdhsa_kernarg_size 24
		.amdhsa_user_sgpr_count 6
		.amdhsa_user_sgpr_private_segment_buffer 1
		.amdhsa_user_sgpr_dispatch_ptr 0
		.amdhsa_user_sgpr_queue_ptr 0
		.amdhsa_user_sgpr_kernarg_segment_ptr 1
		.amdhsa_user_sgpr_dispatch_id 0
		.amdhsa_user_sgpr_flat_scratch_init 0
		.amdhsa_user_sgpr_kernarg_preload_length 0
		.amdhsa_user_sgpr_kernarg_preload_offset 0
		.amdhsa_user_sgpr_private_segment_size 0
		.amdhsa_uses_dynamic_stack 0
		.amdhsa_system_sgpr_private_segment_wavefront_offset 0
		.amdhsa_system_sgpr_workgroup_id_x 1
		.amdhsa_system_sgpr_workgroup_id_y 0
		.amdhsa_system_sgpr_workgroup_id_z 0
		.amdhsa_system_sgpr_workgroup_info 0
		.amdhsa_system_vgpr_workitem_id 0
		.amdhsa_next_free_vgpr 35
		.amdhsa_next_free_sgpr 9
		.amdhsa_accum_offset 36
		.amdhsa_reserve_vcc 1
		.amdhsa_reserve_flat_scratch 0
		.amdhsa_float_round_mode_32 0
		.amdhsa_float_round_mode_16_64 0
		.amdhsa_float_denorm_mode_32 3
		.amdhsa_float_denorm_mode_16_64 3
		.amdhsa_dx10_clamp 1
		.amdhsa_ieee_mode 1
		.amdhsa_fp16_overflow 0
		.amdhsa_tg_split 0
		.amdhsa_exception_fp_ieee_invalid_op 0
		.amdhsa_exception_fp_denorm_src 0
		.amdhsa_exception_fp_ieee_div_zero 0
		.amdhsa_exception_fp_ieee_overflow 0
		.amdhsa_exception_fp_ieee_underflow 0
		.amdhsa_exception_fp_ieee_inexact 0
		.amdhsa_exception_int_div_zero 0
	.end_amdhsa_kernel
	.section	.text._Z30block_run_length_decode_kernelIdcLj256ELj9ELj7EEvPKT_PKT0_PS0_,"axG",@progbits,_Z30block_run_length_decode_kernelIdcLj256ELj9ELj7EEvPKT_PKT0_PS0_,comdat
.Lfunc_end4:
	.size	_Z30block_run_length_decode_kernelIdcLj256ELj9ELj7EEvPKT_PKT0_PS0_, .Lfunc_end4-_Z30block_run_length_decode_kernelIdcLj256ELj9ELj7EEvPKT_PKT0_PS0_
                                        ; -- End function
	.section	.AMDGPU.csdata,"",@progbits
; Kernel info:
; codeLenInByte = 2696
; NumSgprs: 13
; NumVgprs: 35
; NumAgprs: 0
; TotalNumVgprs: 35
; ScratchSize: 0
; MemoryBound: 0
; FloatMode: 240
; IeeeMode: 1
; LDSByteSize: 27648 bytes/workgroup (compile time only)
; SGPRBlocks: 1
; VGPRBlocks: 4
; NumSGPRsForWavesPerEU: 13
; NumVGPRsForWavesPerEU: 35
; AccumOffset: 36
; Occupancy: 2
; WaveLimiterHint : 0
; COMPUTE_PGM_RSRC2:SCRATCH_EN: 0
; COMPUTE_PGM_RSRC2:USER_SGPR: 6
; COMPUTE_PGM_RSRC2:TRAP_HANDLER: 0
; COMPUTE_PGM_RSRC2:TGID_X_EN: 1
; COMPUTE_PGM_RSRC2:TGID_Y_EN: 0
; COMPUTE_PGM_RSRC2:TGID_Z_EN: 0
; COMPUTE_PGM_RSRC2:TIDIG_COMP_CNT: 0
; COMPUTE_PGM_RSRC3_GFX90A:ACCUM_OFFSET: 8
; COMPUTE_PGM_RSRC3_GFX90A:TG_SPLIT: 0
	.section	.text._Z30block_run_length_decode_kernelIiiLj256ELj9ELj7EEvPKT_PKT0_PS0_,"axG",@progbits,_Z30block_run_length_decode_kernelIiiLj256ELj9ELj7EEvPKT_PKT0_PS0_,comdat
	.protected	_Z30block_run_length_decode_kernelIiiLj256ELj9ELj7EEvPKT_PKT0_PS0_ ; -- Begin function _Z30block_run_length_decode_kernelIiiLj256ELj9ELj7EEvPKT_PKT0_PS0_
	.globl	_Z30block_run_length_decode_kernelIiiLj256ELj9ELj7EEvPKT_PKT0_PS0_
	.p2align	8
	.type	_Z30block_run_length_decode_kernelIiiLj256ELj9ELj7EEvPKT_PKT0_PS0_,@function
_Z30block_run_length_decode_kernelIiiLj256ELj9ELj7EEvPKT_PKT0_PS0_: ; @_Z30block_run_length_decode_kernelIiiLj256ELj9ELj7EEvPKT_PKT0_PS0_
; %bb.0:
	s_load_dwordx4 s[0:3], s[4:5], 0x0
	v_lshl_or_b32 v18, s6, 8, v0
	v_lshl_add_u32 v2, v18, 3, v18
	v_mov_b32_e32 v3, 0
	v_lshlrev_b64 v[2:3], 2, v[2:3]
	s_waitcnt lgkmcnt(0)
	v_mov_b32_e32 v1, s3
	v_add_co_u32_e32 v4, vcc, s2, v2
	v_addc_co_u32_e32 v5, vcc, v1, v3, vcc
	global_load_dwordx4 v[14:17], v[4:5], off
	global_load_dwordx4 v[10:13], v[4:5], off offset:16
	global_load_dword v22, v[4:5], off offset:32
	v_mov_b32_e32 v1, s1
	v_add_co_u32_e32 v20, vcc, s0, v2
	v_addc_co_u32_e32 v21, vcc, v1, v3, vcc
	global_load_dword v1, v[20:21], off offset:32
	global_load_dwordx4 v[2:5], v[20:21], off offset:16
	global_load_dwordx4 v[6:9], v[20:21], off
	v_mbcnt_lo_u32_b32 v19, -1, 0
	v_mbcnt_hi_u32_b32 v19, -1, v19
	v_and_b32_e32 v21, 15, v19
	v_cmp_ne_u32_e32 vcc, 0, v21
	v_bfe_i32 v24, v19, 4, 1
	v_or_b32_e32 v23, 63, v0
	v_lshrrev_b32_e32 v20, 6, v0
	s_waitcnt vmcnt(5)
	v_add3_u32 v25, v15, v14, v16
	s_waitcnt vmcnt(4)
	v_add3_u32 v25, v25, v17, v10
	v_add3_u32 v25, v25, v11, v12
	s_waitcnt vmcnt(3)
	v_add3_u32 v22, v25, v13, v22
	s_nop 1
	v_mov_b32_dpp v25, v22 row_shr:1 row_mask:0xf bank_mask:0xf
	v_cndmask_b32_e32 v25, 0, v25, vcc
	v_add_u32_e32 v22, v25, v22
	v_cmp_lt_u32_e32 vcc, 1, v21
	s_nop 0
	v_mov_b32_dpp v25, v22 row_shr:2 row_mask:0xf bank_mask:0xf
	v_cndmask_b32_e32 v25, 0, v25, vcc
	v_add_u32_e32 v22, v22, v25
	v_cmp_lt_u32_e32 vcc, 3, v21
	;; [unrolled: 5-line block ×4, first 2 shown]
	s_nop 0
	v_mov_b32_dpp v22, v21 row_bcast:15 row_mask:0xf bank_mask:0xf
	v_and_b32_e32 v22, v24, v22
	v_add_u32_e32 v21, v21, v22
	s_nop 1
	v_mov_b32_dpp v22, v21 row_bcast:31 row_mask:0xf bank_mask:0xf
	v_cndmask_b32_e32 v22, 0, v22, vcc
	v_add_u32_e32 v21, v21, v22
	v_cmp_eq_u32_e32 vcc, v23, v0
	s_and_saveexec_b64 s[0:1], vcc
	s_cbranch_execz .LBB5_2
; %bb.1:
	v_lshlrev_b32_e32 v22, 2, v20
	ds_write_b32 v22, v21
.LBB5_2:
	s_or_b64 exec, exec, s[0:1]
	v_cmp_gt_u32_e32 vcc, 4, v0
	s_waitcnt lgkmcnt(0)
	s_barrier
	s_and_saveexec_b64 s[0:1], vcc
	s_cbranch_execz .LBB5_4
; %bb.3:
	v_lshlrev_b32_e32 v22, 2, v0
	ds_read_b32 v23, v22
	v_and_b32_e32 v24, 3, v19
	v_cmp_ne_u32_e32 vcc, 0, v24
	s_waitcnt lgkmcnt(0)
	v_mov_b32_dpp v25, v23 row_shr:1 row_mask:0xf bank_mask:0xf
	v_cndmask_b32_e32 v25, 0, v25, vcc
	v_add_u32_e32 v23, v25, v23
	v_cmp_lt_u32_e32 vcc, 1, v24
	s_nop 0
	v_mov_b32_dpp v25, v23 row_shr:2 row_mask:0xf bank_mask:0xf
	v_cndmask_b32_e32 v24, 0, v25, vcc
	v_add_u32_e32 v23, v23, v24
	ds_write_b32 v22, v23
.LBB5_4:
	s_or_b64 exec, exec, s[0:1]
	v_cmp_lt_u32_e32 vcc, 63, v0
	v_mov_b32_e32 v22, 0
	v_mov_b32_e32 v23, 0
	s_waitcnt lgkmcnt(0)
	s_barrier
	s_and_saveexec_b64 s[0:1], vcc
	s_cbranch_execz .LBB5_6
; %bb.5:
	v_lshl_add_u32 v20, v20, 2, -4
	ds_read_b32 v23, v20
.LBB5_6:
	s_or_b64 exec, exec, s[0:1]
	s_waitcnt lgkmcnt(0)
	v_add_u32_e32 v20, v23, v21
	v_add_u32_e32 v21, -1, v19
	v_and_b32_e32 v24, 64, v19
	v_cmp_lt_i32_e32 vcc, v21, v24
	v_cndmask_b32_e32 v21, v21, v19, vcc
	v_lshlrev_b32_e32 v21, 2, v21
	ds_bpermute_b32 v20, v21, v20
	v_cmp_eq_u32_e32 vcc, 0, v19
	v_mul_u32_u24_e32 v21, 9, v0
	v_lshlrev_b32_e32 v21, 2, v21
	s_mov_b32 s1, 0
	s_waitcnt lgkmcnt(0)
	v_cndmask_b32_e32 v19, v20, v23, vcc
	v_cmp_ne_u32_e32 vcc, 0, v0
	v_cndmask_b32_e32 v19, 0, v19, vcc
	v_add_u32_e32 v14, v19, v14
	v_add_u32_e32 v15, v14, v15
	ds_read_b32 v20, v22 offset:12
	v_add_u32_e32 v16, v15, v16
	v_add_u32_e32 v17, v16, v17
	;; [unrolled: 1-line block ×4, first 2 shown]
	s_waitcnt lgkmcnt(0)
	s_barrier
	v_add_u32_e32 v22, 0x2400, v21
	s_waitcnt vmcnt(0)
	ds_write2_b32 v21, v6, v7 offset1:1
	ds_write2_b32 v22, v19, v14 offset1:1
	v_add_u32_e32 v6, 0x2408, v21
	v_add_u32_e32 v12, v11, v12
	ds_write2_b32 v21, v8, v9 offset0:2 offset1:3
	ds_write2_b32 v6, v15, v16 offset1:1
	v_add_u32_e32 v6, 0x2410, v21
	ds_write2_b32 v21, v2, v3 offset0:4 offset1:5
	ds_write2_b32 v6, v17, v10 offset1:1
	v_add_u32_e32 v2, 0x2418, v21
	v_cmp_eq_u32_e32 vcc, 0, v20
	v_add_u32_e32 v13, v12, v13
	v_readfirstlane_b32 s6, v20
	ds_write2_b32 v21, v4, v5 offset0:6 offset1:7
	ds_write2_b32 v2, v11, v12 offset1:1
	v_add_u32_e32 v2, 32, v21
	ds_write2st64_b32 v2, v1, v13 offset1:36
	s_waitcnt lgkmcnt(0)
	s_barrier
	s_cbranch_vccnz .LBB5_59
; %bb.7:
	s_load_dwordx2 s[2:3], s[4:5], 0x10
	v_mov_b32_e32 v1, 0
	ds_read_b32 v5, v1 offset:13824
	v_mul_u32_u24_e32 v4, 7, v0
	v_mul_lo_u32 v0, v18, 7
	v_lshlrev_b64 v[2:3], 2, v[0:1]
	s_waitcnt lgkmcnt(0)
	v_mov_b32_e32 v6, s3
	v_add_co_u32_e32 v1, vcc, s2, v2
	v_addc_co_u32_e32 v6, vcc, v6, v3, vcc
	v_add_u32_e32 v7, 1, v0
	v_add_u32_e32 v8, 2, v0
	;; [unrolled: 1-line block ×6, first 2 shown]
	v_mov_b32_e32 v13, 0x481
	v_mov_b32_e32 v14, 0x900
	;; [unrolled: 1-line block ×5, first 2 shown]
	s_movk_i32 s7, 0x8ff
	s_mov_b32 s8, s6
	s_mov_b32 s0, s1
	s_branch .LBB5_9
.LBB5_8:                                ;   in Loop: Header=BB5_9 Depth=1
	s_or_b64 exec, exec, s[2:3]
	s_addk_i32 s0, 0x700
	s_addk_i32 s8, 0xf900
	s_cmp_lt_u32 s0, s6
	s_cbranch_scc0 .LBB5_59
.LBB5_9:                                ; =>This Inner Loop Header: Depth=1
	v_add_u32_e32 v2, s0, v4
	v_cmp_gt_u32_e32 vcc, v5, v2
	v_cndmask_b32_e32 v18, v16, v17, vcc
	v_lshlrev_b32_e32 v19, 2, v18
	ds_read_b32 v19, v19 offset:9216
	v_cndmask_b32_e64 v3, v13, 0, vcc
	v_cndmask_b32_e32 v20, v14, v15, vcc
	v_or_b32_e32 v21, 1, v18
	s_waitcnt lgkmcnt(0)
	v_cmp_gt_u32_e32 vcc, v19, v2
	v_cndmask_b32_e32 v3, v21, v3, vcc
	v_cndmask_b32_e32 v18, v20, v18, vcc
	v_sub_u32_e32 v19, v18, v3
	v_lshrrev_b16_e32 v20, 15, v19
	v_add_u16_e32 v19, v19, v20
	v_ashrrev_i16_e32 v19, 1, v19
	v_add_u32_sdwa v19, v3, sext(v19) dst_sel:DWORD dst_unused:UNUSED_PAD src0_sel:DWORD src1_sel:WORD_0
	v_min_i32_e32 v19, 0x8ff, v19
	v_lshlrev_b32_e32 v20, 2, v19
	ds_read_b32 v20, v20 offset:9216
	v_add_u32_e32 v21, 1, v19
	s_waitcnt lgkmcnt(0)
	v_cmp_gt_u32_e32 vcc, v20, v2
	v_cndmask_b32_e32 v3, v21, v3, vcc
	v_cndmask_b32_e32 v18, v18, v19, vcc
	v_sub_u32_e32 v19, v18, v3
	v_lshrrev_b16_e32 v20, 15, v19
	v_add_u16_e32 v19, v19, v20
	v_ashrrev_i16_e32 v19, 1, v19
	v_add_u32_sdwa v19, v3, sext(v19) dst_sel:DWORD dst_unused:UNUSED_PAD src0_sel:DWORD src1_sel:WORD_0
	v_min_i32_e32 v19, 0x8ff, v19
	v_lshlrev_b32_e32 v20, 2, v19
	ds_read_b32 v20, v20 offset:9216
	v_add_u32_e32 v21, 1, v19
	;; [unrolled: 13-line block ×7, first 2 shown]
	s_waitcnt lgkmcnt(0)
	v_cmp_gt_u32_e32 vcc, v20, v2
	v_cndmask_b32_e32 v3, v21, v3, vcc
	v_cndmask_b32_e32 v18, v18, v19, vcc
	v_sub_u32_e32 v19, v18, v3
	v_lshrrev_b32_e32 v20, 31, v19
	v_add_u32_e32 v19, v19, v20
	v_ashrrev_i32_e32 v19, 1, v19
	v_add_u32_e32 v19, v19, v3
	v_min_i32_e32 v19, 0x8ff, v19
	v_lshlrev_b32_e32 v20, 2, v19
	ds_read_b32 v20, v20 offset:9216
	v_add_u32_e32 v21, 1, v19
	s_waitcnt lgkmcnt(0)
	v_cmp_gt_u32_e32 vcc, v20, v2
	v_cndmask_b32_e32 v3, v21, v3, vcc
	v_cndmask_b32_e32 v18, v18, v19, vcc
	v_sub_u32_e32 v19, v18, v3
	v_lshrrev_b32_e32 v20, 31, v19
	v_add_u32_e32 v19, v19, v20
	v_ashrrev_i32_e32 v19, 1, v19
	v_add_u32_e32 v19, v19, v3
	v_min_i32_e32 v19, 0x8ff, v19
	v_lshlrev_b32_e32 v20, 2, v19
	ds_read_b32 v20, v20 offset:9216
	v_add_u32_e32 v21, 1, v19
	;; [unrolled: 13-line block ×4, first 2 shown]
	s_waitcnt lgkmcnt(0)
	v_cmp_gt_u32_e32 vcc, v19, v2
	v_cndmask_b32_e32 v20, v18, v3, vcc
	v_add_u32_e32 v3, -1, v20
	v_cmp_ne_u32_e32 vcc, s7, v3
                                        ; implicit-def: $vgpr19
	s_and_saveexec_b64 s[2:3], vcc
	s_xor_b64 s[2:3], exec, s[2:3]
	s_cbranch_execz .LBB5_11
; %bb.10:                               ;   in Loop: Header=BB5_9 Depth=1
	v_lshlrev_b32_e32 v18, 2, v20
	ds_read_b32 v19, v18 offset:9216
.LBB5_11:                               ;   in Loop: Header=BB5_9 Depth=1
	s_andn2_saveexec_b64 s[2:3], s[2:3]
	s_cbranch_execz .LBB5_13
; %bb.12:                               ;   in Loop: Header=BB5_9 Depth=1
	s_waitcnt lgkmcnt(0)
	v_add_u32_e32 v19, 7, v2
.LBB5_13:                               ;   in Loop: Header=BB5_9 Depth=1
	s_or_b64 exec, exec, s[2:3]
	v_lshlrev_b32_e32 v18, 2, v3
	ds_read_b32 v18, v18
	s_waitcnt lgkmcnt(1)
	v_add_u32_e32 v23, -1, v19
	v_cmp_eq_u32_e32 vcc, v2, v23
	s_waitcnt lgkmcnt(0)
	v_mov_b32_e32 v19, v18
	s_and_saveexec_b64 s[2:3], vcc
	s_cbranch_execz .LBB5_19
; %bb.14:                               ;   in Loop: Header=BB5_9 Depth=1
	v_cmp_ne_u32_e32 vcc, s7, v20
	v_lshlrev_b32_e32 v3, 2, v20
                                        ; implicit-def: $vgpr21
	s_and_saveexec_b64 s[4:5], vcc
	s_xor_b64 s[4:5], exec, s[4:5]
	s_cbranch_execz .LBB5_16
; %bb.15:                               ;   in Loop: Header=BB5_9 Depth=1
	ds_read_b32 v21, v3 offset:9220
.LBB5_16:                               ;   in Loop: Header=BB5_9 Depth=1
	s_andn2_saveexec_b64 s[4:5], s[4:5]
	s_cbranch_execz .LBB5_18
; %bb.17:                               ;   in Loop: Header=BB5_9 Depth=1
	s_waitcnt lgkmcnt(0)
	v_add_u32_e32 v21, 7, v2
.LBB5_18:                               ;   in Loop: Header=BB5_9 Depth=1
	s_or_b64 exec, exec, s[4:5]
	ds_read_b32 v19, v3
	s_waitcnt lgkmcnt(1)
	v_add_u32_e32 v23, -1, v21
	v_mov_b32_e32 v3, v20
.LBB5_19:                               ;   in Loop: Header=BB5_9 Depth=1
	s_or_b64 exec, exec, s[2:3]
	v_add_u32_e32 v20, 1, v2
	v_cmp_eq_u32_e32 vcc, v20, v23
	s_waitcnt lgkmcnt(0)
	v_mov_b32_e32 v20, v19
	s_and_saveexec_b64 s[2:3], vcc
	s_cbranch_execz .LBB5_25
; %bb.20:                               ;   in Loop: Header=BB5_9 Depth=1
	v_add_u32_e32 v21, 1, v3
	v_cmp_ne_u32_e32 vcc, s7, v21
                                        ; implicit-def: $vgpr22
	s_and_saveexec_b64 s[4:5], vcc
	s_xor_b64 s[4:5], exec, s[4:5]
	s_cbranch_execz .LBB5_22
; %bb.21:                               ;   in Loop: Header=BB5_9 Depth=1
	v_lshlrev_b32_e32 v3, 2, v3
	ds_read_b32 v22, v3 offset:9224
.LBB5_22:                               ;   in Loop: Header=BB5_9 Depth=1
	s_andn2_saveexec_b64 s[4:5], s[4:5]
	s_cbranch_execz .LBB5_24
; %bb.23:                               ;   in Loop: Header=BB5_9 Depth=1
	s_waitcnt lgkmcnt(0)
	v_add_u32_e32 v22, 8, v2
.LBB5_24:                               ;   in Loop: Header=BB5_9 Depth=1
	s_or_b64 exec, exec, s[4:5]
	v_lshlrev_b32_e32 v3, 2, v21
	ds_read_b32 v20, v3
	s_waitcnt lgkmcnt(1)
	v_add_u32_e32 v23, -1, v22
	v_mov_b32_e32 v3, v21
.LBB5_25:                               ;   in Loop: Header=BB5_9 Depth=1
	s_or_b64 exec, exec, s[2:3]
	v_add_u32_e32 v21, 2, v2
	v_cmp_eq_u32_e32 vcc, v21, v23
	s_waitcnt lgkmcnt(0)
	v_mov_b32_e32 v21, v20
	s_and_saveexec_b64 s[2:3], vcc
	s_cbranch_execz .LBB5_31
; %bb.26:                               ;   in Loop: Header=BB5_9 Depth=1
	v_add_u32_e32 v22, 1, v3
	v_cmp_ne_u32_e32 vcc, s7, v22
                                        ; implicit-def: $vgpr23
	s_and_saveexec_b64 s[4:5], vcc
	s_xor_b64 s[4:5], exec, s[4:5]
	s_cbranch_execz .LBB5_28
; %bb.27:                               ;   in Loop: Header=BB5_9 Depth=1
	v_lshlrev_b32_e32 v3, 2, v3
	ds_read_b32 v23, v3 offset:9224
.LBB5_28:                               ;   in Loop: Header=BB5_9 Depth=1
	s_andn2_saveexec_b64 s[4:5], s[4:5]
	s_cbranch_execz .LBB5_30
; %bb.29:                               ;   in Loop: Header=BB5_9 Depth=1
	s_waitcnt lgkmcnt(0)
	v_add_u32_e32 v23, 9, v2
.LBB5_30:                               ;   in Loop: Header=BB5_9 Depth=1
	s_or_b64 exec, exec, s[4:5]
	v_lshlrev_b32_e32 v3, 2, v22
	ds_read_b32 v21, v3
	s_waitcnt lgkmcnt(1)
	v_add_u32_e32 v23, -1, v23
	v_mov_b32_e32 v3, v22
.LBB5_31:                               ;   in Loop: Header=BB5_9 Depth=1
	s_or_b64 exec, exec, s[2:3]
	v_add_u32_e32 v22, 3, v2
	v_cmp_eq_u32_e32 vcc, v22, v23
	s_waitcnt lgkmcnt(0)
	v_mov_b32_e32 v22, v21
	s_and_saveexec_b64 s[2:3], vcc
	s_cbranch_execz .LBB5_37
; %bb.32:                               ;   in Loop: Header=BB5_9 Depth=1
	v_add_u32_e32 v24, 1, v3
	v_cmp_ne_u32_e32 vcc, s7, v24
                                        ; implicit-def: $vgpr23
	s_and_saveexec_b64 s[4:5], vcc
	s_xor_b64 s[4:5], exec, s[4:5]
	s_cbranch_execz .LBB5_34
; %bb.33:                               ;   in Loop: Header=BB5_9 Depth=1
	v_lshlrev_b32_e32 v3, 2, v3
	ds_read_b32 v23, v3 offset:9224
.LBB5_34:                               ;   in Loop: Header=BB5_9 Depth=1
	s_andn2_saveexec_b64 s[4:5], s[4:5]
	s_cbranch_execz .LBB5_36
; %bb.35:                               ;   in Loop: Header=BB5_9 Depth=1
	s_waitcnt lgkmcnt(0)
	v_add_u32_e32 v23, 10, v2
.LBB5_36:                               ;   in Loop: Header=BB5_9 Depth=1
	s_or_b64 exec, exec, s[4:5]
	v_lshlrev_b32_e32 v3, 2, v24
	ds_read_b32 v22, v3
	s_waitcnt lgkmcnt(1)
	v_add_u32_e32 v23, -1, v23
	v_mov_b32_e32 v3, v24
.LBB5_37:                               ;   in Loop: Header=BB5_9 Depth=1
	;; [unrolled: 31-line block ×3, first 2 shown]
	s_or_b64 exec, exec, s[2:3]
	v_add_u32_e32 v2, 5, v2
	v_cmp_eq_u32_e32 vcc, v2, v23
	s_waitcnt lgkmcnt(0)
	v_mov_b32_e32 v23, v24
	s_and_saveexec_b64 s[2:3], vcc
	s_cbranch_execz .LBB5_45
; %bb.44:                               ;   in Loop: Header=BB5_9 Depth=1
	v_lshlrev_b32_e32 v2, 2, v3
	ds_read_b32 v23, v2 offset:4
.LBB5_45:                               ;   in Loop: Header=BB5_9 Depth=1
	s_or_b64 exec, exec, s[2:3]
	s_lshl_b64 s[2:3], s[0:1], 2
	v_mov_b32_e32 v3, s3
	v_add_co_u32_e32 v2, vcc, s2, v1
	s_min_u32 s4, s8, 0x700
	v_addc_co_u32_e32 v3, vcc, v6, v3, vcc
	v_cmp_gt_u32_e32 vcc, s4, v0
	s_and_saveexec_b64 s[2:3], vcc
	s_cbranch_execnz .LBB5_52
; %bb.46:                               ;   in Loop: Header=BB5_9 Depth=1
	s_or_b64 exec, exec, s[2:3]
	v_cmp_gt_u32_e32 vcc, s4, v7
	s_and_saveexec_b64 s[2:3], vcc
	s_cbranch_execnz .LBB5_53
.LBB5_47:                               ;   in Loop: Header=BB5_9 Depth=1
	s_or_b64 exec, exec, s[2:3]
	v_cmp_gt_u32_e32 vcc, s4, v8
	s_and_saveexec_b64 s[2:3], vcc
	s_cbranch_execnz .LBB5_54
.LBB5_48:                               ;   in Loop: Header=BB5_9 Depth=1
	s_or_b64 exec, exec, s[2:3]
	v_cmp_gt_u32_e32 vcc, s4, v9
	s_and_saveexec_b64 s[2:3], vcc
	s_cbranch_execnz .LBB5_55
.LBB5_49:                               ;   in Loop: Header=BB5_9 Depth=1
	s_or_b64 exec, exec, s[2:3]
	v_cmp_gt_u32_e32 vcc, s4, v10
	s_and_saveexec_b64 s[2:3], vcc
	s_cbranch_execnz .LBB5_56
.LBB5_50:                               ;   in Loop: Header=BB5_9 Depth=1
	s_or_b64 exec, exec, s[2:3]
	v_cmp_gt_u32_e32 vcc, s4, v11
	s_and_saveexec_b64 s[2:3], vcc
	s_cbranch_execnz .LBB5_57
.LBB5_51:                               ;   in Loop: Header=BB5_9 Depth=1
	s_or_b64 exec, exec, s[2:3]
	v_cmp_gt_u32_e32 vcc, s4, v12
	s_and_saveexec_b64 s[2:3], vcc
	s_cbranch_execz .LBB5_8
	s_branch .LBB5_58
.LBB5_52:                               ;   in Loop: Header=BB5_9 Depth=1
	global_store_dword v[2:3], v18, off
	s_or_b64 exec, exec, s[2:3]
	v_cmp_gt_u32_e32 vcc, s4, v7
	s_and_saveexec_b64 s[2:3], vcc
	s_cbranch_execz .LBB5_47
.LBB5_53:                               ;   in Loop: Header=BB5_9 Depth=1
	global_store_dword v[2:3], v19, off offset:4
	s_or_b64 exec, exec, s[2:3]
	v_cmp_gt_u32_e32 vcc, s4, v8
	s_and_saveexec_b64 s[2:3], vcc
	s_cbranch_execz .LBB5_48
.LBB5_54:                               ;   in Loop: Header=BB5_9 Depth=1
	global_store_dword v[2:3], v20, off offset:8
	s_or_b64 exec, exec, s[2:3]
	v_cmp_gt_u32_e32 vcc, s4, v9
	s_and_saveexec_b64 s[2:3], vcc
	s_cbranch_execz .LBB5_49
.LBB5_55:                               ;   in Loop: Header=BB5_9 Depth=1
	global_store_dword v[2:3], v21, off offset:12
	s_or_b64 exec, exec, s[2:3]
	v_cmp_gt_u32_e32 vcc, s4, v10
	s_and_saveexec_b64 s[2:3], vcc
	s_cbranch_execz .LBB5_50
.LBB5_56:                               ;   in Loop: Header=BB5_9 Depth=1
	global_store_dword v[2:3], v22, off offset:16
	s_or_b64 exec, exec, s[2:3]
	v_cmp_gt_u32_e32 vcc, s4, v11
	s_and_saveexec_b64 s[2:3], vcc
	s_cbranch_execz .LBB5_51
.LBB5_57:                               ;   in Loop: Header=BB5_9 Depth=1
	global_store_dword v[2:3], v24, off offset:20
	s_or_b64 exec, exec, s[2:3]
	v_cmp_gt_u32_e32 vcc, s4, v12
	s_and_saveexec_b64 s[2:3], vcc
	s_cbranch_execz .LBB5_8
.LBB5_58:                               ;   in Loop: Header=BB5_9 Depth=1
	s_waitcnt lgkmcnt(0)
	global_store_dword v[2:3], v23, off offset:24
	s_branch .LBB5_8
.LBB5_59:
	s_endpgm
	.section	.rodata,"a",@progbits
	.p2align	6, 0x0
	.amdhsa_kernel _Z30block_run_length_decode_kernelIiiLj256ELj9ELj7EEvPKT_PKT0_PS0_
		.amdhsa_group_segment_fixed_size 18432
		.amdhsa_private_segment_fixed_size 0
		.amdhsa_kernarg_size 24
		.amdhsa_user_sgpr_count 6
		.amdhsa_user_sgpr_private_segment_buffer 1
		.amdhsa_user_sgpr_dispatch_ptr 0
		.amdhsa_user_sgpr_queue_ptr 0
		.amdhsa_user_sgpr_kernarg_segment_ptr 1
		.amdhsa_user_sgpr_dispatch_id 0
		.amdhsa_user_sgpr_flat_scratch_init 0
		.amdhsa_user_sgpr_kernarg_preload_length 0
		.amdhsa_user_sgpr_kernarg_preload_offset 0
		.amdhsa_user_sgpr_private_segment_size 0
		.amdhsa_uses_dynamic_stack 0
		.amdhsa_system_sgpr_private_segment_wavefront_offset 0
		.amdhsa_system_sgpr_workgroup_id_x 1
		.amdhsa_system_sgpr_workgroup_id_y 0
		.amdhsa_system_sgpr_workgroup_id_z 0
		.amdhsa_system_sgpr_workgroup_info 0
		.amdhsa_system_vgpr_workitem_id 0
		.amdhsa_next_free_vgpr 26
		.amdhsa_next_free_sgpr 9
		.amdhsa_accum_offset 28
		.amdhsa_reserve_vcc 1
		.amdhsa_reserve_flat_scratch 0
		.amdhsa_float_round_mode_32 0
		.amdhsa_float_round_mode_16_64 0
		.amdhsa_float_denorm_mode_32 3
		.amdhsa_float_denorm_mode_16_64 3
		.amdhsa_dx10_clamp 1
		.amdhsa_ieee_mode 1
		.amdhsa_fp16_overflow 0
		.amdhsa_tg_split 0
		.amdhsa_exception_fp_ieee_invalid_op 0
		.amdhsa_exception_fp_denorm_src 0
		.amdhsa_exception_fp_ieee_div_zero 0
		.amdhsa_exception_fp_ieee_overflow 0
		.amdhsa_exception_fp_ieee_underflow 0
		.amdhsa_exception_fp_ieee_inexact 0
		.amdhsa_exception_int_div_zero 0
	.end_amdhsa_kernel
	.section	.text._Z30block_run_length_decode_kernelIiiLj256ELj9ELj7EEvPKT_PKT0_PS0_,"axG",@progbits,_Z30block_run_length_decode_kernelIiiLj256ELj9ELj7EEvPKT_PKT0_PS0_,comdat
.Lfunc_end5:
	.size	_Z30block_run_length_decode_kernelIiiLj256ELj9ELj7EEvPKT_PKT0_PS0_, .Lfunc_end5-_Z30block_run_length_decode_kernelIiiLj256ELj9ELj7EEvPKT_PKT0_PS0_
                                        ; -- End function
	.section	.AMDGPU.csdata,"",@progbits
; Kernel info:
; codeLenInByte = 2568
; NumSgprs: 13
; NumVgprs: 26
; NumAgprs: 0
; TotalNumVgprs: 26
; ScratchSize: 0
; MemoryBound: 0
; FloatMode: 240
; IeeeMode: 1
; LDSByteSize: 18432 bytes/workgroup (compile time only)
; SGPRBlocks: 1
; VGPRBlocks: 3
; NumSGPRsForWavesPerEU: 13
; NumVGPRsForWavesPerEU: 26
; AccumOffset: 28
; Occupancy: 3
; WaveLimiterHint : 0
; COMPUTE_PGM_RSRC2:SCRATCH_EN: 0
; COMPUTE_PGM_RSRC2:USER_SGPR: 6
; COMPUTE_PGM_RSRC2:TRAP_HANDLER: 0
; COMPUTE_PGM_RSRC2:TGID_X_EN: 1
; COMPUTE_PGM_RSRC2:TGID_Y_EN: 0
; COMPUTE_PGM_RSRC2:TGID_Z_EN: 0
; COMPUTE_PGM_RSRC2:TIDIG_COMP_CNT: 0
; COMPUTE_PGM_RSRC3_GFX90A:ACCUM_OFFSET: 6
; COMPUTE_PGM_RSRC3_GFX90A:TG_SPLIT: 0
	.section	.text._Z30block_run_length_decode_kernelI12hip_bfloat16iLj256ELj1ELj14EEvPKT_PKT0_PS1_,"axG",@progbits,_Z30block_run_length_decode_kernelI12hip_bfloat16iLj256ELj1ELj14EEvPKT_PKT0_PS1_,comdat
	.protected	_Z30block_run_length_decode_kernelI12hip_bfloat16iLj256ELj1ELj14EEvPKT_PKT0_PS1_ ; -- Begin function _Z30block_run_length_decode_kernelI12hip_bfloat16iLj256ELj1ELj14EEvPKT_PKT0_PS1_
	.globl	_Z30block_run_length_decode_kernelI12hip_bfloat16iLj256ELj1ELj14EEvPKT_PKT0_PS1_
	.p2align	8
	.type	_Z30block_run_length_decode_kernelI12hip_bfloat16iLj256ELj1ELj14EEvPKT_PKT0_PS1_,@function
_Z30block_run_length_decode_kernelI12hip_bfloat16iLj256ELj1ELj14EEvPKT_PKT0_PS1_: ; @_Z30block_run_length_decode_kernelI12hip_bfloat16iLj256ELj1ELj14EEvPKT_PKT0_PS1_
; %bb.0:
	s_load_dwordx4 s[0:3], s[4:5], 0x0
	v_lshl_or_b32 v2, s6, 8, v0
	v_mov_b32_e32 v3, 0
	v_lshlrev_b64 v[4:5], 2, v[2:3]
	s_waitcnt lgkmcnt(0)
	v_mov_b32_e32 v1, s3
	v_add_co_u32_e32 v4, vcc, s2, v4
	v_addc_co_u32_e32 v5, vcc, v1, v5, vcc
	global_load_dword v6, v[4:5], off
	v_lshlrev_b64 v[4:5], 1, v[2:3]
	v_mov_b32_e32 v1, s1
	v_add_co_u32_e32 v4, vcc, s0, v4
	v_addc_co_u32_e32 v5, vcc, v1, v5, vcc
	global_load_ushort v1, v[4:5], off
	v_mbcnt_lo_u32_b32 v3, -1, 0
	v_mbcnt_hi_u32_b32 v3, -1, v3
	v_and_b32_e32 v7, 15, v3
	v_cmp_ne_u32_e32 vcc, 0, v7
	v_bfe_i32 v8, v3, 4, 1
	v_or_b32_e32 v5, 63, v0
	v_lshrrev_b32_e32 v4, 6, v0
	s_waitcnt vmcnt(1)
	v_mov_b32_dpp v9, v6 row_shr:1 row_mask:0xf bank_mask:0xf
	v_cndmask_b32_e32 v9, 0, v9, vcc
	v_add_u32_e32 v6, v9, v6
	v_cmp_lt_u32_e32 vcc, 1, v7
	s_nop 0
	v_mov_b32_dpp v9, v6 row_shr:2 row_mask:0xf bank_mask:0xf
	v_cndmask_b32_e32 v9, 0, v9, vcc
	v_add_u32_e32 v6, v6, v9
	v_cmp_lt_u32_e32 vcc, 3, v7
	s_nop 0
	;; [unrolled: 5-line block ×4, first 2 shown]
	v_mov_b32_dpp v7, v6 row_bcast:15 row_mask:0xf bank_mask:0xf
	v_and_b32_e32 v7, v8, v7
	v_add_u32_e32 v6, v6, v7
	s_nop 1
	v_mov_b32_dpp v7, v6 row_bcast:31 row_mask:0xf bank_mask:0xf
	v_cndmask_b32_e32 v7, 0, v7, vcc
	v_add_u32_e32 v6, v6, v7
	v_cmp_eq_u32_e32 vcc, v5, v0
	s_and_saveexec_b64 s[0:1], vcc
	s_cbranch_execz .LBB6_2
; %bb.1:
	v_lshlrev_b32_e32 v5, 2, v4
	ds_write_b32 v5, v6
.LBB6_2:
	s_or_b64 exec, exec, s[0:1]
	v_cmp_gt_u32_e32 vcc, 4, v0
	v_lshlrev_b32_e32 v5, 2, v0
	s_waitcnt lgkmcnt(0)
	s_barrier
	s_and_saveexec_b64 s[0:1], vcc
	s_cbranch_execz .LBB6_4
; %bb.3:
	ds_read_b32 v7, v5
	v_and_b32_e32 v8, 3, v3
	v_cmp_ne_u32_e32 vcc, 0, v8
	s_waitcnt lgkmcnt(0)
	v_mov_b32_dpp v9, v7 row_shr:1 row_mask:0xf bank_mask:0xf
	v_cndmask_b32_e32 v9, 0, v9, vcc
	v_add_u32_e32 v7, v9, v7
	v_cmp_lt_u32_e32 vcc, 1, v8
	s_nop 0
	v_mov_b32_dpp v9, v7 row_shr:2 row_mask:0xf bank_mask:0xf
	v_cndmask_b32_e32 v8, 0, v9, vcc
	v_add_u32_e32 v7, v7, v8
	ds_write_b32 v5, v7
.LBB6_4:
	s_or_b64 exec, exec, s[0:1]
	v_cmp_lt_u32_e32 vcc, 63, v0
	v_mov_b32_e32 v7, 0
	v_mov_b32_e32 v8, 0
	s_waitcnt lgkmcnt(0)
	s_barrier
	s_and_saveexec_b64 s[0:1], vcc
	s_cbranch_execz .LBB6_6
; %bb.5:
	v_lshl_add_u32 v4, v4, 2, -4
	ds_read_b32 v8, v4
.LBB6_6:
	s_or_b64 exec, exec, s[0:1]
	s_waitcnt lgkmcnt(0)
	v_add_u32_e32 v4, v8, v6
	v_add_u32_e32 v6, -1, v3
	v_and_b32_e32 v9, 64, v3
	v_cmp_lt_i32_e32 vcc, v6, v9
	v_cndmask_b32_e32 v6, v6, v3, vcc
	v_lshlrev_b32_e32 v6, 2, v6
	ds_bpermute_b32 v4, v6, v4
	ds_read_b32 v6, v7 offset:12
	v_cmp_eq_u32_e32 vcc, 0, v3
	s_mov_b32 s1, 0
	s_waitcnt lgkmcnt(0)
	v_cndmask_b32_e32 v3, v4, v8, vcc
	v_cmp_eq_u32_e32 vcc, 0, v6
	v_readfirstlane_b32 s6, v6
	v_lshlrev_b32_e32 v4, 1, v0
	s_and_b64 vcc, exec, vcc
	s_barrier
	s_waitcnt vmcnt(0)
	ds_write_b16 v4, v1
	ds_write_b32 v5, v3 offset:512
	s_waitcnt lgkmcnt(0)
	s_barrier
	s_cbranch_vccnz .LBB6_115
; %bb.7:
	s_load_dwordx2 s[2:3], s[4:5], 0x10
	v_mov_b32_e32 v1, 0
	ds_read_b32 v5, v1 offset:1024
	v_mul_u32_u24_e32 v4, 14, v0
	v_mul_lo_u32 v0, v2, 14
	v_lshlrev_b64 v[2:3], 1, v[0:1]
	s_waitcnt lgkmcnt(0)
	v_mov_b32_e32 v6, s3
	v_add_co_u32_e32 v1, vcc, s2, v2
	v_addc_co_u32_e32 v6, vcc, v6, v3, vcc
	v_or_b32_e32 v7, 1, v0
	v_add_u32_e32 v8, 2, v0
	v_add_u32_e32 v9, 3, v0
	v_add_u32_e32 v10, 4, v0
	v_add_u32_e32 v11, 5, v0
	v_add_u32_e32 v12, 6, v0
	v_add_u32_e32 v13, 7, v0
	v_add_u32_e32 v14, 8, v0
	v_add_u32_e32 v15, 9, v0
	v_add_u32_e32 v16, 10, v0
	v_add_u32_e32 v17, 11, v0
	v_add_u32_e32 v18, 12, v0
	v_add_u32_e32 v19, 13, v0
	v_mov_b32_e32 v20, 0x81
	v_mov_b32_e32 v21, 0x100
	;; [unrolled: 1-line block ×4, first 2 shown]
	s_movk_i32 s7, 0xff
	s_mov_b32 s8, s6
	s_mov_b32 s0, s1
	s_branch .LBB6_9
.LBB6_8:                                ;   in Loop: Header=BB6_9 Depth=1
	s_or_b64 exec, exec, s[2:3]
	s_addk_i32 s0, 0xe00
	s_addk_i32 s8, 0xf200
	s_cmp_lt_u32 s0, s6
	s_cbranch_scc0 .LBB6_115
.LBB6_9:                                ; =>This Inner Loop Header: Depth=1
	v_add_u32_e32 v2, s0, v4
	v_cmp_gt_u32_e32 vcc, v5, v2
	v_cndmask_b32_e64 v24, v23, 64, vcc
	v_lshlrev_b32_e32 v25, 2, v24
	ds_read_b32 v25, v25 offset:512
	v_cndmask_b32_e64 v3, v20, 0, vcc
	v_cndmask_b32_e32 v26, v21, v22, vcc
	v_or_b32_e32 v27, 1, v24
	s_waitcnt lgkmcnt(0)
	v_cmp_gt_u32_e32 vcc, v25, v2
	v_cndmask_b32_e32 v3, v27, v3, vcc
	v_cndmask_b32_e32 v24, v26, v24, vcc
	v_sub_u32_e32 v25, v24, v3
	v_lshrrev_b16_e32 v26, 15, v25
	v_add_u16_e32 v25, v25, v26
	v_ashrrev_i16_e32 v25, 1, v25
	v_add_u32_sdwa v25, v3, sext(v25) dst_sel:DWORD dst_unused:UNUSED_PAD src0_sel:DWORD src1_sel:WORD_0
	v_min_i32_e32 v25, 0xff, v25
	v_lshlrev_b32_e32 v26, 2, v25
	ds_read_b32 v26, v26 offset:512
	v_add_u32_e32 v27, 1, v25
	s_waitcnt lgkmcnt(0)
	v_cmp_gt_u32_e32 vcc, v26, v2
	v_cndmask_b32_e32 v3, v27, v3, vcc
	v_cndmask_b32_e32 v24, v24, v25, vcc
	v_sub_u32_e32 v25, v24, v3
	v_lshrrev_b16_e32 v26, 15, v25
	v_add_u16_e32 v25, v25, v26
	v_ashrrev_i16_e32 v25, 1, v25
	v_add_u32_sdwa v25, v3, sext(v25) dst_sel:DWORD dst_unused:UNUSED_PAD src0_sel:DWORD src1_sel:WORD_0
	v_min_i32_e32 v25, 0xff, v25
	v_lshlrev_b32_e32 v26, 2, v25
	ds_read_b32 v26, v26 offset:512
	v_add_u32_e32 v27, 1, v25
	;; [unrolled: 13-line block ×7, first 2 shown]
	s_waitcnt lgkmcnt(0)
	v_cmp_gt_u32_e32 vcc, v25, v2
	v_cndmask_b32_e32 v26, v24, v3, vcc
	v_add_u32_e32 v3, -1, v26
	v_cmp_ne_u32_e32 vcc, s7, v3
                                        ; implicit-def: $vgpr25
	s_and_saveexec_b64 s[2:3], vcc
	s_xor_b64 s[2:3], exec, s[2:3]
	s_cbranch_execz .LBB6_11
; %bb.10:                               ;   in Loop: Header=BB6_9 Depth=1
	v_lshlrev_b32_e32 v24, 2, v26
	ds_read_b32 v25, v24 offset:512
.LBB6_11:                               ;   in Loop: Header=BB6_9 Depth=1
	s_andn2_saveexec_b64 s[2:3], s[2:3]
	s_cbranch_execz .LBB6_13
; %bb.12:                               ;   in Loop: Header=BB6_9 Depth=1
	s_waitcnt lgkmcnt(0)
	v_add_u32_e32 v25, 14, v2
.LBB6_13:                               ;   in Loop: Header=BB6_9 Depth=1
	s_or_b64 exec, exec, s[2:3]
	v_lshlrev_b32_e32 v24, 1, v3
	ds_read_u16 v24, v24
	s_waitcnt lgkmcnt(1)
	v_add_u32_e32 v34, -1, v25
	v_cmp_eq_u32_e32 vcc, v2, v34
	s_waitcnt lgkmcnt(0)
	v_mov_b32_e32 v25, v24
	s_and_saveexec_b64 s[2:3], vcc
	s_cbranch_execz .LBB6_19
; %bb.14:                               ;   in Loop: Header=BB6_9 Depth=1
	v_cmp_ne_u32_e32 vcc, s7, v26
                                        ; implicit-def: $vgpr3
	s_and_saveexec_b64 s[4:5], vcc
	s_xor_b64 s[4:5], exec, s[4:5]
	s_cbranch_execz .LBB6_16
; %bb.15:                               ;   in Loop: Header=BB6_9 Depth=1
	v_lshlrev_b32_e32 v3, 2, v26
	ds_read_b32 v3, v3 offset:516
.LBB6_16:                               ;   in Loop: Header=BB6_9 Depth=1
	s_andn2_saveexec_b64 s[4:5], s[4:5]
	s_cbranch_execz .LBB6_18
; %bb.17:                               ;   in Loop: Header=BB6_9 Depth=1
	s_waitcnt lgkmcnt(0)
	v_add_u32_e32 v3, 14, v2
.LBB6_18:                               ;   in Loop: Header=BB6_9 Depth=1
	s_or_b64 exec, exec, s[4:5]
	v_lshlrev_b32_e32 v25, 1, v26
	ds_read_u16 v25, v25
	s_waitcnt lgkmcnt(1)
	v_add_u32_e32 v34, -1, v3
	v_mov_b32_e32 v3, v26
.LBB6_19:                               ;   in Loop: Header=BB6_9 Depth=1
	s_or_b64 exec, exec, s[2:3]
	v_add_u32_e32 v26, 1, v2
	v_cmp_eq_u32_e32 vcc, v26, v34
	s_waitcnt lgkmcnt(0)
	v_mov_b32_e32 v26, v25
	s_and_saveexec_b64 s[2:3], vcc
	s_cbranch_execz .LBB6_25
; %bb.20:                               ;   in Loop: Header=BB6_9 Depth=1
	v_add_u32_e32 v27, 1, v3
	v_cmp_ne_u32_e32 vcc, s7, v27
                                        ; implicit-def: $vgpr28
	s_and_saveexec_b64 s[4:5], vcc
	s_xor_b64 s[4:5], exec, s[4:5]
	s_cbranch_execz .LBB6_22
; %bb.21:                               ;   in Loop: Header=BB6_9 Depth=1
	v_lshlrev_b32_e32 v3, 2, v3
	ds_read_b32 v28, v3 offset:520
.LBB6_22:                               ;   in Loop: Header=BB6_9 Depth=1
	s_andn2_saveexec_b64 s[4:5], s[4:5]
	s_cbranch_execz .LBB6_24
; %bb.23:                               ;   in Loop: Header=BB6_9 Depth=1
	s_waitcnt lgkmcnt(0)
	v_add_u32_e32 v28, 15, v2
.LBB6_24:                               ;   in Loop: Header=BB6_9 Depth=1
	s_or_b64 exec, exec, s[4:5]
	v_lshlrev_b32_e32 v3, 1, v27
	ds_read_u16 v26, v3
	s_waitcnt lgkmcnt(1)
	v_add_u32_e32 v34, -1, v28
	v_mov_b32_e32 v3, v27
.LBB6_25:                               ;   in Loop: Header=BB6_9 Depth=1
	s_or_b64 exec, exec, s[2:3]
	v_add_u32_e32 v27, 2, v2
	v_cmp_eq_u32_e32 vcc, v27, v34
	s_waitcnt lgkmcnt(0)
	v_mov_b32_e32 v27, v26
	s_and_saveexec_b64 s[2:3], vcc
	s_cbranch_execz .LBB6_31
; %bb.26:                               ;   in Loop: Header=BB6_9 Depth=1
	v_add_u32_e32 v28, 1, v3
	v_cmp_ne_u32_e32 vcc, s7, v28
                                        ; implicit-def: $vgpr29
	s_and_saveexec_b64 s[4:5], vcc
	s_xor_b64 s[4:5], exec, s[4:5]
	s_cbranch_execz .LBB6_28
; %bb.27:                               ;   in Loop: Header=BB6_9 Depth=1
	v_lshlrev_b32_e32 v3, 2, v3
	ds_read_b32 v29, v3 offset:520
.LBB6_28:                               ;   in Loop: Header=BB6_9 Depth=1
	s_andn2_saveexec_b64 s[4:5], s[4:5]
	s_cbranch_execz .LBB6_30
; %bb.29:                               ;   in Loop: Header=BB6_9 Depth=1
	s_waitcnt lgkmcnt(0)
	v_add_u32_e32 v29, 16, v2
.LBB6_30:                               ;   in Loop: Header=BB6_9 Depth=1
	s_or_b64 exec, exec, s[4:5]
	v_lshlrev_b32_e32 v3, 1, v28
	ds_read_u16 v27, v3
	s_waitcnt lgkmcnt(1)
	v_add_u32_e32 v34, -1, v29
	v_mov_b32_e32 v3, v28
.LBB6_31:                               ;   in Loop: Header=BB6_9 Depth=1
	s_or_b64 exec, exec, s[2:3]
	v_add_u32_e32 v28, 3, v2
	v_cmp_eq_u32_e32 vcc, v28, v34
	s_waitcnt lgkmcnt(0)
	v_mov_b32_e32 v28, v27
	s_and_saveexec_b64 s[2:3], vcc
	s_cbranch_execz .LBB6_37
; %bb.32:                               ;   in Loop: Header=BB6_9 Depth=1
	v_add_u32_e32 v29, 1, v3
	v_cmp_ne_u32_e32 vcc, s7, v29
                                        ; implicit-def: $vgpr30
	s_and_saveexec_b64 s[4:5], vcc
	s_xor_b64 s[4:5], exec, s[4:5]
	s_cbranch_execz .LBB6_34
; %bb.33:                               ;   in Loop: Header=BB6_9 Depth=1
	v_lshlrev_b32_e32 v3, 2, v3
	ds_read_b32 v30, v3 offset:520
.LBB6_34:                               ;   in Loop: Header=BB6_9 Depth=1
	s_andn2_saveexec_b64 s[4:5], s[4:5]
	s_cbranch_execz .LBB6_36
; %bb.35:                               ;   in Loop: Header=BB6_9 Depth=1
	s_waitcnt lgkmcnt(0)
	v_add_u32_e32 v30, 17, v2
.LBB6_36:                               ;   in Loop: Header=BB6_9 Depth=1
	s_or_b64 exec, exec, s[4:5]
	v_lshlrev_b32_e32 v3, 1, v29
	ds_read_u16 v28, v3
	s_waitcnt lgkmcnt(1)
	v_add_u32_e32 v34, -1, v30
	v_mov_b32_e32 v3, v29
.LBB6_37:                               ;   in Loop: Header=BB6_9 Depth=1
	s_or_b64 exec, exec, s[2:3]
	v_add_u32_e32 v29, 4, v2
	v_cmp_eq_u32_e32 vcc, v29, v34
	s_waitcnt lgkmcnt(0)
	v_mov_b32_e32 v29, v28
	s_and_saveexec_b64 s[2:3], vcc
	s_cbranch_execz .LBB6_43
; %bb.38:                               ;   in Loop: Header=BB6_9 Depth=1
	v_add_u32_e32 v30, 1, v3
	v_cmp_ne_u32_e32 vcc, s7, v30
                                        ; implicit-def: $vgpr31
	s_and_saveexec_b64 s[4:5], vcc
	s_xor_b64 s[4:5], exec, s[4:5]
	s_cbranch_execz .LBB6_40
; %bb.39:                               ;   in Loop: Header=BB6_9 Depth=1
	v_lshlrev_b32_e32 v3, 2, v3
	ds_read_b32 v31, v3 offset:520
.LBB6_40:                               ;   in Loop: Header=BB6_9 Depth=1
	s_andn2_saveexec_b64 s[4:5], s[4:5]
	s_cbranch_execz .LBB6_42
; %bb.41:                               ;   in Loop: Header=BB6_9 Depth=1
	s_waitcnt lgkmcnt(0)
	v_add_u32_e32 v31, 18, v2
.LBB6_42:                               ;   in Loop: Header=BB6_9 Depth=1
	s_or_b64 exec, exec, s[4:5]
	v_lshlrev_b32_e32 v3, 1, v30
	ds_read_u16 v29, v3
	s_waitcnt lgkmcnt(1)
	v_add_u32_e32 v34, -1, v31
	v_mov_b32_e32 v3, v30
.LBB6_43:                               ;   in Loop: Header=BB6_9 Depth=1
	s_or_b64 exec, exec, s[2:3]
	v_add_u32_e32 v30, 5, v2
	v_cmp_eq_u32_e32 vcc, v30, v34
	s_waitcnt lgkmcnt(0)
	v_mov_b32_e32 v30, v29
	s_and_saveexec_b64 s[2:3], vcc
	s_cbranch_execz .LBB6_49
; %bb.44:                               ;   in Loop: Header=BB6_9 Depth=1
	v_add_u32_e32 v31, 1, v3
	v_cmp_ne_u32_e32 vcc, s7, v31
                                        ; implicit-def: $vgpr32
	s_and_saveexec_b64 s[4:5], vcc
	s_xor_b64 s[4:5], exec, s[4:5]
	s_cbranch_execz .LBB6_46
; %bb.45:                               ;   in Loop: Header=BB6_9 Depth=1
	v_lshlrev_b32_e32 v3, 2, v3
	ds_read_b32 v32, v3 offset:520
.LBB6_46:                               ;   in Loop: Header=BB6_9 Depth=1
	s_andn2_saveexec_b64 s[4:5], s[4:5]
	s_cbranch_execz .LBB6_48
; %bb.47:                               ;   in Loop: Header=BB6_9 Depth=1
	s_waitcnt lgkmcnt(0)
	v_add_u32_e32 v32, 19, v2
.LBB6_48:                               ;   in Loop: Header=BB6_9 Depth=1
	s_or_b64 exec, exec, s[4:5]
	v_lshlrev_b32_e32 v3, 1, v31
	ds_read_u16 v30, v3
	s_waitcnt lgkmcnt(1)
	v_add_u32_e32 v34, -1, v32
	v_mov_b32_e32 v3, v31
.LBB6_49:                               ;   in Loop: Header=BB6_9 Depth=1
	s_or_b64 exec, exec, s[2:3]
	v_add_u32_e32 v31, 6, v2
	v_cmp_eq_u32_e32 vcc, v31, v34
	s_waitcnt lgkmcnt(0)
	v_mov_b32_e32 v31, v30
	s_and_saveexec_b64 s[2:3], vcc
	s_cbranch_execz .LBB6_55
; %bb.50:                               ;   in Loop: Header=BB6_9 Depth=1
	v_add_u32_e32 v32, 1, v3
	v_cmp_ne_u32_e32 vcc, s7, v32
                                        ; implicit-def: $vgpr33
	s_and_saveexec_b64 s[4:5], vcc
	s_xor_b64 s[4:5], exec, s[4:5]
	s_cbranch_execz .LBB6_52
; %bb.51:                               ;   in Loop: Header=BB6_9 Depth=1
	v_lshlrev_b32_e32 v3, 2, v3
	ds_read_b32 v33, v3 offset:520
.LBB6_52:                               ;   in Loop: Header=BB6_9 Depth=1
	s_andn2_saveexec_b64 s[4:5], s[4:5]
	s_cbranch_execz .LBB6_54
; %bb.53:                               ;   in Loop: Header=BB6_9 Depth=1
	s_waitcnt lgkmcnt(0)
	v_add_u32_e32 v33, 20, v2
.LBB6_54:                               ;   in Loop: Header=BB6_9 Depth=1
	s_or_b64 exec, exec, s[4:5]
	v_lshlrev_b32_e32 v3, 1, v32
	ds_read_u16 v31, v3
	s_waitcnt lgkmcnt(1)
	v_add_u32_e32 v34, -1, v33
	v_mov_b32_e32 v3, v32
.LBB6_55:                               ;   in Loop: Header=BB6_9 Depth=1
	s_or_b64 exec, exec, s[2:3]
	v_add_u32_e32 v32, 7, v2
	v_cmp_eq_u32_e32 vcc, v32, v34
	s_waitcnt lgkmcnt(0)
	v_mov_b32_e32 v32, v31
	s_and_saveexec_b64 s[2:3], vcc
	s_cbranch_execz .LBB6_61
; %bb.56:                               ;   in Loop: Header=BB6_9 Depth=1
	v_add_u32_e32 v33, 1, v3
	v_cmp_ne_u32_e32 vcc, s7, v33
                                        ; implicit-def: $vgpr34
	s_and_saveexec_b64 s[4:5], vcc
	s_xor_b64 s[4:5], exec, s[4:5]
	s_cbranch_execz .LBB6_58
; %bb.57:                               ;   in Loop: Header=BB6_9 Depth=1
	v_lshlrev_b32_e32 v3, 2, v3
	ds_read_b32 v34, v3 offset:520
.LBB6_58:                               ;   in Loop: Header=BB6_9 Depth=1
	s_andn2_saveexec_b64 s[4:5], s[4:5]
	s_cbranch_execz .LBB6_60
; %bb.59:                               ;   in Loop: Header=BB6_9 Depth=1
	s_waitcnt lgkmcnt(0)
	v_add_u32_e32 v34, 21, v2
.LBB6_60:                               ;   in Loop: Header=BB6_9 Depth=1
	s_or_b64 exec, exec, s[4:5]
	v_lshlrev_b32_e32 v3, 1, v33
	ds_read_u16 v32, v3
	s_waitcnt lgkmcnt(1)
	v_add_u32_e32 v34, -1, v34
	v_mov_b32_e32 v3, v33
.LBB6_61:                               ;   in Loop: Header=BB6_9 Depth=1
	s_or_b64 exec, exec, s[2:3]
	v_add_u32_e32 v33, 8, v2
	v_cmp_eq_u32_e32 vcc, v33, v34
	s_waitcnt lgkmcnt(0)
	v_mov_b32_e32 v33, v32
	s_and_saveexec_b64 s[2:3], vcc
	s_cbranch_execz .LBB6_67
; %bb.62:                               ;   in Loop: Header=BB6_9 Depth=1
	v_add_u32_e32 v35, 1, v3
	v_cmp_ne_u32_e32 vcc, s7, v35
                                        ; implicit-def: $vgpr34
	s_and_saveexec_b64 s[4:5], vcc
	s_xor_b64 s[4:5], exec, s[4:5]
	s_cbranch_execz .LBB6_64
; %bb.63:                               ;   in Loop: Header=BB6_9 Depth=1
	v_lshlrev_b32_e32 v3, 2, v3
	ds_read_b32 v34, v3 offset:520
.LBB6_64:                               ;   in Loop: Header=BB6_9 Depth=1
	s_andn2_saveexec_b64 s[4:5], s[4:5]
	s_cbranch_execz .LBB6_66
; %bb.65:                               ;   in Loop: Header=BB6_9 Depth=1
	s_waitcnt lgkmcnt(0)
	v_add_u32_e32 v34, 22, v2
.LBB6_66:                               ;   in Loop: Header=BB6_9 Depth=1
	s_or_b64 exec, exec, s[4:5]
	v_lshlrev_b32_e32 v3, 1, v35
	ds_read_u16 v33, v3
	s_waitcnt lgkmcnt(1)
	v_add_u32_e32 v34, -1, v34
	v_mov_b32_e32 v3, v35
.LBB6_67:                               ;   in Loop: Header=BB6_9 Depth=1
	;; [unrolled: 31-line block ×5, first 2 shown]
	s_or_b64 exec, exec, s[2:3]
	v_add_u32_e32 v2, 12, v2
	v_cmp_eq_u32_e32 vcc, v2, v34
	s_waitcnt lgkmcnt(0)
	v_mov_b32_e32 v34, v37
	s_and_saveexec_b64 s[2:3], vcc
	s_cbranch_execz .LBB6_87
; %bb.86:                               ;   in Loop: Header=BB6_9 Depth=1
	v_lshlrev_b32_e32 v2, 1, v3
	ds_read_u16 v34, v2 offset:2
.LBB6_87:                               ;   in Loop: Header=BB6_9 Depth=1
	s_or_b64 exec, exec, s[2:3]
	s_lshl_b64 s[2:3], s[0:1], 1
	v_mov_b32_e32 v3, s3
	v_add_co_u32_e32 v2, vcc, s2, v1
	s_min_u32 s4, s8, 0xe00
	v_addc_co_u32_e32 v3, vcc, v6, v3, vcc
	v_cmp_gt_u32_e32 vcc, s4, v0
	s_and_saveexec_b64 s[2:3], vcc
	s_cbranch_execnz .LBB6_101
; %bb.88:                               ;   in Loop: Header=BB6_9 Depth=1
	s_or_b64 exec, exec, s[2:3]
	v_cmp_gt_u32_e32 vcc, s4, v7
	s_and_saveexec_b64 s[2:3], vcc
	s_cbranch_execnz .LBB6_102
.LBB6_89:                               ;   in Loop: Header=BB6_9 Depth=1
	s_or_b64 exec, exec, s[2:3]
	v_cmp_gt_u32_e32 vcc, s4, v8
	s_and_saveexec_b64 s[2:3], vcc
	s_cbranch_execnz .LBB6_103
.LBB6_90:                               ;   in Loop: Header=BB6_9 Depth=1
	s_or_b64 exec, exec, s[2:3]
	v_cmp_gt_u32_e32 vcc, s4, v9
	s_and_saveexec_b64 s[2:3], vcc
	s_cbranch_execnz .LBB6_104
.LBB6_91:                               ;   in Loop: Header=BB6_9 Depth=1
	s_or_b64 exec, exec, s[2:3]
	v_cmp_gt_u32_e32 vcc, s4, v10
	s_and_saveexec_b64 s[2:3], vcc
	s_cbranch_execnz .LBB6_105
.LBB6_92:                               ;   in Loop: Header=BB6_9 Depth=1
	s_or_b64 exec, exec, s[2:3]
	v_cmp_gt_u32_e32 vcc, s4, v11
	s_and_saveexec_b64 s[2:3], vcc
	s_cbranch_execnz .LBB6_106
.LBB6_93:                               ;   in Loop: Header=BB6_9 Depth=1
	s_or_b64 exec, exec, s[2:3]
	v_cmp_gt_u32_e32 vcc, s4, v12
	s_and_saveexec_b64 s[2:3], vcc
	s_cbranch_execnz .LBB6_107
.LBB6_94:                               ;   in Loop: Header=BB6_9 Depth=1
	s_or_b64 exec, exec, s[2:3]
	v_cmp_gt_u32_e32 vcc, s4, v13
	s_and_saveexec_b64 s[2:3], vcc
	s_cbranch_execnz .LBB6_108
.LBB6_95:                               ;   in Loop: Header=BB6_9 Depth=1
	s_or_b64 exec, exec, s[2:3]
	v_cmp_gt_u32_e32 vcc, s4, v14
	s_and_saveexec_b64 s[2:3], vcc
	s_cbranch_execnz .LBB6_109
.LBB6_96:                               ;   in Loop: Header=BB6_9 Depth=1
	s_or_b64 exec, exec, s[2:3]
	v_cmp_gt_u32_e32 vcc, s4, v15
	s_and_saveexec_b64 s[2:3], vcc
	s_cbranch_execnz .LBB6_110
.LBB6_97:                               ;   in Loop: Header=BB6_9 Depth=1
	s_or_b64 exec, exec, s[2:3]
	v_cmp_gt_u32_e32 vcc, s4, v16
	s_and_saveexec_b64 s[2:3], vcc
	s_cbranch_execnz .LBB6_111
.LBB6_98:                               ;   in Loop: Header=BB6_9 Depth=1
	s_or_b64 exec, exec, s[2:3]
	v_cmp_gt_u32_e32 vcc, s4, v17
	s_and_saveexec_b64 s[2:3], vcc
	s_cbranch_execnz .LBB6_112
.LBB6_99:                               ;   in Loop: Header=BB6_9 Depth=1
	s_or_b64 exec, exec, s[2:3]
	v_cmp_gt_u32_e32 vcc, s4, v18
	s_and_saveexec_b64 s[2:3], vcc
	s_cbranch_execnz .LBB6_113
.LBB6_100:                              ;   in Loop: Header=BB6_9 Depth=1
	s_or_b64 exec, exec, s[2:3]
	v_cmp_gt_u32_e32 vcc, s4, v19
	s_and_saveexec_b64 s[2:3], vcc
	s_cbranch_execz .LBB6_8
	s_branch .LBB6_114
.LBB6_101:                              ;   in Loop: Header=BB6_9 Depth=1
	global_store_short v[2:3], v24, off
	s_or_b64 exec, exec, s[2:3]
	v_cmp_gt_u32_e32 vcc, s4, v7
	s_and_saveexec_b64 s[2:3], vcc
	s_cbranch_execz .LBB6_89
.LBB6_102:                              ;   in Loop: Header=BB6_9 Depth=1
	global_store_short v[2:3], v25, off offset:2
	s_or_b64 exec, exec, s[2:3]
	v_cmp_gt_u32_e32 vcc, s4, v8
	s_and_saveexec_b64 s[2:3], vcc
	s_cbranch_execz .LBB6_90
.LBB6_103:                              ;   in Loop: Header=BB6_9 Depth=1
	global_store_short v[2:3], v26, off offset:4
	s_or_b64 exec, exec, s[2:3]
	v_cmp_gt_u32_e32 vcc, s4, v9
	s_and_saveexec_b64 s[2:3], vcc
	s_cbranch_execz .LBB6_91
.LBB6_104:                              ;   in Loop: Header=BB6_9 Depth=1
	global_store_short v[2:3], v27, off offset:6
	s_or_b64 exec, exec, s[2:3]
	v_cmp_gt_u32_e32 vcc, s4, v10
	s_and_saveexec_b64 s[2:3], vcc
	s_cbranch_execz .LBB6_92
.LBB6_105:                              ;   in Loop: Header=BB6_9 Depth=1
	global_store_short v[2:3], v28, off offset:8
	s_or_b64 exec, exec, s[2:3]
	v_cmp_gt_u32_e32 vcc, s4, v11
	s_and_saveexec_b64 s[2:3], vcc
	s_cbranch_execz .LBB6_93
.LBB6_106:                              ;   in Loop: Header=BB6_9 Depth=1
	global_store_short v[2:3], v29, off offset:10
	s_or_b64 exec, exec, s[2:3]
	v_cmp_gt_u32_e32 vcc, s4, v12
	s_and_saveexec_b64 s[2:3], vcc
	s_cbranch_execz .LBB6_94
.LBB6_107:                              ;   in Loop: Header=BB6_9 Depth=1
	global_store_short v[2:3], v30, off offset:12
	s_or_b64 exec, exec, s[2:3]
	v_cmp_gt_u32_e32 vcc, s4, v13
	s_and_saveexec_b64 s[2:3], vcc
	s_cbranch_execz .LBB6_95
.LBB6_108:                              ;   in Loop: Header=BB6_9 Depth=1
	global_store_short v[2:3], v31, off offset:14
	s_or_b64 exec, exec, s[2:3]
	v_cmp_gt_u32_e32 vcc, s4, v14
	s_and_saveexec_b64 s[2:3], vcc
	s_cbranch_execz .LBB6_96
.LBB6_109:                              ;   in Loop: Header=BB6_9 Depth=1
	global_store_short v[2:3], v32, off offset:16
	s_or_b64 exec, exec, s[2:3]
	v_cmp_gt_u32_e32 vcc, s4, v15
	s_and_saveexec_b64 s[2:3], vcc
	s_cbranch_execz .LBB6_97
.LBB6_110:                              ;   in Loop: Header=BB6_9 Depth=1
	global_store_short v[2:3], v33, off offset:18
	s_or_b64 exec, exec, s[2:3]
	v_cmp_gt_u32_e32 vcc, s4, v16
	s_and_saveexec_b64 s[2:3], vcc
	s_cbranch_execz .LBB6_98
.LBB6_111:                              ;   in Loop: Header=BB6_9 Depth=1
	global_store_short v[2:3], v35, off offset:20
	s_or_b64 exec, exec, s[2:3]
	v_cmp_gt_u32_e32 vcc, s4, v17
	s_and_saveexec_b64 s[2:3], vcc
	s_cbranch_execz .LBB6_99
.LBB6_112:                              ;   in Loop: Header=BB6_9 Depth=1
	global_store_short v[2:3], v36, off offset:22
	s_or_b64 exec, exec, s[2:3]
	v_cmp_gt_u32_e32 vcc, s4, v18
	s_and_saveexec_b64 s[2:3], vcc
	s_cbranch_execz .LBB6_100
.LBB6_113:                              ;   in Loop: Header=BB6_9 Depth=1
	global_store_short v[2:3], v37, off offset:24
	s_or_b64 exec, exec, s[2:3]
	v_cmp_gt_u32_e32 vcc, s4, v19
	s_and_saveexec_b64 s[2:3], vcc
	s_cbranch_execz .LBB6_8
.LBB6_114:                              ;   in Loop: Header=BB6_9 Depth=1
	s_waitcnt lgkmcnt(0)
	global_store_short v[2:3], v34, off offset:26
	s_branch .LBB6_8
.LBB6_115:
	s_endpgm
	.section	.rodata,"a",@progbits
	.p2align	6, 0x0
	.amdhsa_kernel _Z30block_run_length_decode_kernelI12hip_bfloat16iLj256ELj1ELj14EEvPKT_PKT0_PS1_
		.amdhsa_group_segment_fixed_size 1536
		.amdhsa_private_segment_fixed_size 0
		.amdhsa_kernarg_size 24
		.amdhsa_user_sgpr_count 6
		.amdhsa_user_sgpr_private_segment_buffer 1
		.amdhsa_user_sgpr_dispatch_ptr 0
		.amdhsa_user_sgpr_queue_ptr 0
		.amdhsa_user_sgpr_kernarg_segment_ptr 1
		.amdhsa_user_sgpr_dispatch_id 0
		.amdhsa_user_sgpr_flat_scratch_init 0
		.amdhsa_user_sgpr_kernarg_preload_length 0
		.amdhsa_user_sgpr_kernarg_preload_offset 0
		.amdhsa_user_sgpr_private_segment_size 0
		.amdhsa_uses_dynamic_stack 0
		.amdhsa_system_sgpr_private_segment_wavefront_offset 0
		.amdhsa_system_sgpr_workgroup_id_x 1
		.amdhsa_system_sgpr_workgroup_id_y 0
		.amdhsa_system_sgpr_workgroup_id_z 0
		.amdhsa_system_sgpr_workgroup_info 0
		.amdhsa_system_vgpr_workitem_id 0
		.amdhsa_next_free_vgpr 39
		.amdhsa_next_free_sgpr 9
		.amdhsa_accum_offset 40
		.amdhsa_reserve_vcc 1
		.amdhsa_reserve_flat_scratch 0
		.amdhsa_float_round_mode_32 0
		.amdhsa_float_round_mode_16_64 0
		.amdhsa_float_denorm_mode_32 3
		.amdhsa_float_denorm_mode_16_64 3
		.amdhsa_dx10_clamp 1
		.amdhsa_ieee_mode 1
		.amdhsa_fp16_overflow 0
		.amdhsa_tg_split 0
		.amdhsa_exception_fp_ieee_invalid_op 0
		.amdhsa_exception_fp_denorm_src 0
		.amdhsa_exception_fp_ieee_div_zero 0
		.amdhsa_exception_fp_ieee_overflow 0
		.amdhsa_exception_fp_ieee_underflow 0
		.amdhsa_exception_fp_ieee_inexact 0
		.amdhsa_exception_int_div_zero 0
	.end_amdhsa_kernel
	.section	.text._Z30block_run_length_decode_kernelI12hip_bfloat16iLj256ELj1ELj14EEvPKT_PKT0_PS1_,"axG",@progbits,_Z30block_run_length_decode_kernelI12hip_bfloat16iLj256ELj1ELj14EEvPKT_PKT0_PS1_,comdat
.Lfunc_end6:
	.size	_Z30block_run_length_decode_kernelI12hip_bfloat16iLj256ELj1ELj14EEvPKT_PKT0_PS1_, .Lfunc_end6-_Z30block_run_length_decode_kernelI12hip_bfloat16iLj256ELj1ELj14EEvPKT_PKT0_PS1_
                                        ; -- End function
	.section	.AMDGPU.csdata,"",@progbits
; Kernel info:
; codeLenInByte = 3152
; NumSgprs: 13
; NumVgprs: 39
; NumAgprs: 0
; TotalNumVgprs: 39
; ScratchSize: 0
; MemoryBound: 0
; FloatMode: 240
; IeeeMode: 1
; LDSByteSize: 1536 bytes/workgroup (compile time only)
; SGPRBlocks: 1
; VGPRBlocks: 4
; NumSGPRsForWavesPerEU: 13
; NumVGPRsForWavesPerEU: 39
; AccumOffset: 40
; Occupancy: 8
; WaveLimiterHint : 0
; COMPUTE_PGM_RSRC2:SCRATCH_EN: 0
; COMPUTE_PGM_RSRC2:USER_SGPR: 6
; COMPUTE_PGM_RSRC2:TRAP_HANDLER: 0
; COMPUTE_PGM_RSRC2:TGID_X_EN: 1
; COMPUTE_PGM_RSRC2:TGID_Y_EN: 0
; COMPUTE_PGM_RSRC2:TGID_Z_EN: 0
; COMPUTE_PGM_RSRC2:TIDIG_COMP_CNT: 0
; COMPUTE_PGM_RSRC3_GFX90A:ACCUM_OFFSET: 9
; COMPUTE_PGM_RSRC3_GFX90A:TG_SPLIT: 0
	.section	.text._Z30block_run_length_decode_kernelI6__halfiLj256ELj1ELj14EEvPKT_PKT0_PS1_,"axG",@progbits,_Z30block_run_length_decode_kernelI6__halfiLj256ELj1ELj14EEvPKT_PKT0_PS1_,comdat
	.protected	_Z30block_run_length_decode_kernelI6__halfiLj256ELj1ELj14EEvPKT_PKT0_PS1_ ; -- Begin function _Z30block_run_length_decode_kernelI6__halfiLj256ELj1ELj14EEvPKT_PKT0_PS1_
	.globl	_Z30block_run_length_decode_kernelI6__halfiLj256ELj1ELj14EEvPKT_PKT0_PS1_
	.p2align	8
	.type	_Z30block_run_length_decode_kernelI6__halfiLj256ELj1ELj14EEvPKT_PKT0_PS1_,@function
_Z30block_run_length_decode_kernelI6__halfiLj256ELj1ELj14EEvPKT_PKT0_PS1_: ; @_Z30block_run_length_decode_kernelI6__halfiLj256ELj1ELj14EEvPKT_PKT0_PS1_
; %bb.0:
	s_load_dwordx4 s[0:3], s[4:5], 0x0
	v_lshl_or_b32 v2, s6, 8, v0
	v_mov_b32_e32 v3, 0
	v_lshlrev_b64 v[4:5], 2, v[2:3]
	s_waitcnt lgkmcnt(0)
	v_mov_b32_e32 v1, s3
	v_add_co_u32_e32 v4, vcc, s2, v4
	v_addc_co_u32_e32 v5, vcc, v1, v5, vcc
	global_load_dword v6, v[4:5], off
	v_lshlrev_b64 v[4:5], 1, v[2:3]
	v_mov_b32_e32 v1, s1
	v_add_co_u32_e32 v4, vcc, s0, v4
	v_addc_co_u32_e32 v5, vcc, v1, v5, vcc
	global_load_ushort v1, v[4:5], off
	v_mbcnt_lo_u32_b32 v3, -1, 0
	v_mbcnt_hi_u32_b32 v3, -1, v3
	v_and_b32_e32 v7, 15, v3
	v_cmp_ne_u32_e32 vcc, 0, v7
	v_bfe_i32 v8, v3, 4, 1
	v_or_b32_e32 v5, 63, v0
	v_lshrrev_b32_e32 v4, 6, v0
	s_waitcnt vmcnt(1)
	v_mov_b32_dpp v9, v6 row_shr:1 row_mask:0xf bank_mask:0xf
	v_cndmask_b32_e32 v9, 0, v9, vcc
	v_add_u32_e32 v6, v9, v6
	v_cmp_lt_u32_e32 vcc, 1, v7
	s_nop 0
	v_mov_b32_dpp v9, v6 row_shr:2 row_mask:0xf bank_mask:0xf
	v_cndmask_b32_e32 v9, 0, v9, vcc
	v_add_u32_e32 v6, v6, v9
	v_cmp_lt_u32_e32 vcc, 3, v7
	s_nop 0
	;; [unrolled: 5-line block ×4, first 2 shown]
	v_mov_b32_dpp v7, v6 row_bcast:15 row_mask:0xf bank_mask:0xf
	v_and_b32_e32 v7, v8, v7
	v_add_u32_e32 v6, v6, v7
	s_nop 1
	v_mov_b32_dpp v7, v6 row_bcast:31 row_mask:0xf bank_mask:0xf
	v_cndmask_b32_e32 v7, 0, v7, vcc
	v_add_u32_e32 v6, v6, v7
	v_cmp_eq_u32_e32 vcc, v5, v0
	s_and_saveexec_b64 s[0:1], vcc
	s_cbranch_execz .LBB7_2
; %bb.1:
	v_lshlrev_b32_e32 v5, 2, v4
	ds_write_b32 v5, v6
.LBB7_2:
	s_or_b64 exec, exec, s[0:1]
	v_cmp_gt_u32_e32 vcc, 4, v0
	v_lshlrev_b32_e32 v5, 2, v0
	s_waitcnt lgkmcnt(0)
	s_barrier
	s_and_saveexec_b64 s[0:1], vcc
	s_cbranch_execz .LBB7_4
; %bb.3:
	ds_read_b32 v7, v5
	v_and_b32_e32 v8, 3, v3
	v_cmp_ne_u32_e32 vcc, 0, v8
	s_waitcnt lgkmcnt(0)
	v_mov_b32_dpp v9, v7 row_shr:1 row_mask:0xf bank_mask:0xf
	v_cndmask_b32_e32 v9, 0, v9, vcc
	v_add_u32_e32 v7, v9, v7
	v_cmp_lt_u32_e32 vcc, 1, v8
	s_nop 0
	v_mov_b32_dpp v9, v7 row_shr:2 row_mask:0xf bank_mask:0xf
	v_cndmask_b32_e32 v8, 0, v9, vcc
	v_add_u32_e32 v7, v7, v8
	ds_write_b32 v5, v7
.LBB7_4:
	s_or_b64 exec, exec, s[0:1]
	v_cmp_lt_u32_e32 vcc, 63, v0
	v_mov_b32_e32 v7, 0
	v_mov_b32_e32 v8, 0
	s_waitcnt lgkmcnt(0)
	s_barrier
	s_and_saveexec_b64 s[0:1], vcc
	s_cbranch_execz .LBB7_6
; %bb.5:
	v_lshl_add_u32 v4, v4, 2, -4
	ds_read_b32 v8, v4
.LBB7_6:
	s_or_b64 exec, exec, s[0:1]
	s_waitcnt lgkmcnt(0)
	v_add_u32_e32 v4, v8, v6
	v_add_u32_e32 v6, -1, v3
	v_and_b32_e32 v9, 64, v3
	v_cmp_lt_i32_e32 vcc, v6, v9
	v_cndmask_b32_e32 v6, v6, v3, vcc
	v_lshlrev_b32_e32 v6, 2, v6
	ds_bpermute_b32 v4, v6, v4
	ds_read_b32 v6, v7 offset:12
	v_cmp_eq_u32_e32 vcc, 0, v3
	s_mov_b32 s1, 0
	s_waitcnt lgkmcnt(0)
	v_cndmask_b32_e32 v3, v4, v8, vcc
	v_cmp_eq_u32_e32 vcc, 0, v6
	v_readfirstlane_b32 s6, v6
	v_lshlrev_b32_e32 v4, 1, v0
	s_and_b64 vcc, exec, vcc
	s_barrier
	s_waitcnt vmcnt(0)
	ds_write_b16 v4, v1
	ds_write_b32 v5, v3 offset:512
	s_waitcnt lgkmcnt(0)
	s_barrier
	s_cbranch_vccnz .LBB7_115
; %bb.7:
	s_load_dwordx2 s[2:3], s[4:5], 0x10
	v_mov_b32_e32 v1, 0
	ds_read_b32 v5, v1 offset:1024
	v_mul_u32_u24_e32 v4, 14, v0
	v_mul_lo_u32 v0, v2, 14
	v_lshlrev_b64 v[2:3], 1, v[0:1]
	s_waitcnt lgkmcnt(0)
	v_mov_b32_e32 v6, s3
	v_add_co_u32_e32 v1, vcc, s2, v2
	v_addc_co_u32_e32 v6, vcc, v6, v3, vcc
	v_or_b32_e32 v7, 1, v0
	v_add_u32_e32 v8, 2, v0
	v_add_u32_e32 v9, 3, v0
	;; [unrolled: 1-line block ×12, first 2 shown]
	v_mov_b32_e32 v20, 0x81
	v_mov_b32_e32 v21, 0x100
	;; [unrolled: 1-line block ×4, first 2 shown]
	s_movk_i32 s7, 0xff
	s_mov_b32 s8, s6
	s_mov_b32 s0, s1
	s_branch .LBB7_9
.LBB7_8:                                ;   in Loop: Header=BB7_9 Depth=1
	s_or_b64 exec, exec, s[2:3]
	s_addk_i32 s0, 0xe00
	s_addk_i32 s8, 0xf200
	s_cmp_lt_u32 s0, s6
	s_cbranch_scc0 .LBB7_115
.LBB7_9:                                ; =>This Inner Loop Header: Depth=1
	v_add_u32_e32 v2, s0, v4
	v_cmp_gt_u32_e32 vcc, v5, v2
	v_cndmask_b32_e64 v24, v23, 64, vcc
	v_lshlrev_b32_e32 v25, 2, v24
	ds_read_b32 v25, v25 offset:512
	v_cndmask_b32_e64 v3, v20, 0, vcc
	v_cndmask_b32_e32 v26, v21, v22, vcc
	v_or_b32_e32 v27, 1, v24
	s_waitcnt lgkmcnt(0)
	v_cmp_gt_u32_e32 vcc, v25, v2
	v_cndmask_b32_e32 v3, v27, v3, vcc
	v_cndmask_b32_e32 v24, v26, v24, vcc
	v_sub_u32_e32 v25, v24, v3
	v_lshrrev_b16_e32 v26, 15, v25
	v_add_u16_e32 v25, v25, v26
	v_ashrrev_i16_e32 v25, 1, v25
	v_add_u32_sdwa v25, v3, sext(v25) dst_sel:DWORD dst_unused:UNUSED_PAD src0_sel:DWORD src1_sel:WORD_0
	v_min_i32_e32 v25, 0xff, v25
	v_lshlrev_b32_e32 v26, 2, v25
	ds_read_b32 v26, v26 offset:512
	v_add_u32_e32 v27, 1, v25
	s_waitcnt lgkmcnt(0)
	v_cmp_gt_u32_e32 vcc, v26, v2
	v_cndmask_b32_e32 v3, v27, v3, vcc
	v_cndmask_b32_e32 v24, v24, v25, vcc
	v_sub_u32_e32 v25, v24, v3
	v_lshrrev_b16_e32 v26, 15, v25
	v_add_u16_e32 v25, v25, v26
	v_ashrrev_i16_e32 v25, 1, v25
	v_add_u32_sdwa v25, v3, sext(v25) dst_sel:DWORD dst_unused:UNUSED_PAD src0_sel:DWORD src1_sel:WORD_0
	v_min_i32_e32 v25, 0xff, v25
	v_lshlrev_b32_e32 v26, 2, v25
	ds_read_b32 v26, v26 offset:512
	v_add_u32_e32 v27, 1, v25
	;; [unrolled: 13-line block ×7, first 2 shown]
	s_waitcnt lgkmcnt(0)
	v_cmp_gt_u32_e32 vcc, v25, v2
	v_cndmask_b32_e32 v26, v24, v3, vcc
	v_add_u32_e32 v3, -1, v26
	v_cmp_ne_u32_e32 vcc, s7, v3
                                        ; implicit-def: $vgpr25
	s_and_saveexec_b64 s[2:3], vcc
	s_xor_b64 s[2:3], exec, s[2:3]
	s_cbranch_execz .LBB7_11
; %bb.10:                               ;   in Loop: Header=BB7_9 Depth=1
	v_lshlrev_b32_e32 v24, 2, v26
	ds_read_b32 v25, v24 offset:512
.LBB7_11:                               ;   in Loop: Header=BB7_9 Depth=1
	s_andn2_saveexec_b64 s[2:3], s[2:3]
	s_cbranch_execz .LBB7_13
; %bb.12:                               ;   in Loop: Header=BB7_9 Depth=1
	s_waitcnt lgkmcnt(0)
	v_add_u32_e32 v25, 14, v2
.LBB7_13:                               ;   in Loop: Header=BB7_9 Depth=1
	s_or_b64 exec, exec, s[2:3]
	v_lshlrev_b32_e32 v24, 1, v3
	ds_read_u16 v24, v24
	s_waitcnt lgkmcnt(1)
	v_add_u32_e32 v34, -1, v25
	v_cmp_eq_u32_e32 vcc, v2, v34
	s_waitcnt lgkmcnt(0)
	v_mov_b32_e32 v25, v24
	s_and_saveexec_b64 s[2:3], vcc
	s_cbranch_execz .LBB7_19
; %bb.14:                               ;   in Loop: Header=BB7_9 Depth=1
	v_cmp_ne_u32_e32 vcc, s7, v26
                                        ; implicit-def: $vgpr3
	s_and_saveexec_b64 s[4:5], vcc
	s_xor_b64 s[4:5], exec, s[4:5]
	s_cbranch_execz .LBB7_16
; %bb.15:                               ;   in Loop: Header=BB7_9 Depth=1
	v_lshlrev_b32_e32 v3, 2, v26
	ds_read_b32 v3, v3 offset:516
.LBB7_16:                               ;   in Loop: Header=BB7_9 Depth=1
	s_andn2_saveexec_b64 s[4:5], s[4:5]
	s_cbranch_execz .LBB7_18
; %bb.17:                               ;   in Loop: Header=BB7_9 Depth=1
	s_waitcnt lgkmcnt(0)
	v_add_u32_e32 v3, 14, v2
.LBB7_18:                               ;   in Loop: Header=BB7_9 Depth=1
	s_or_b64 exec, exec, s[4:5]
	v_lshlrev_b32_e32 v25, 1, v26
	ds_read_u16 v25, v25
	s_waitcnt lgkmcnt(1)
	v_add_u32_e32 v34, -1, v3
	v_mov_b32_e32 v3, v26
.LBB7_19:                               ;   in Loop: Header=BB7_9 Depth=1
	s_or_b64 exec, exec, s[2:3]
	v_add_u32_e32 v26, 1, v2
	v_cmp_eq_u32_e32 vcc, v26, v34
	s_waitcnt lgkmcnt(0)
	v_mov_b32_e32 v26, v25
	s_and_saveexec_b64 s[2:3], vcc
	s_cbranch_execz .LBB7_25
; %bb.20:                               ;   in Loop: Header=BB7_9 Depth=1
	v_add_u32_e32 v27, 1, v3
	v_cmp_ne_u32_e32 vcc, s7, v27
                                        ; implicit-def: $vgpr28
	s_and_saveexec_b64 s[4:5], vcc
	s_xor_b64 s[4:5], exec, s[4:5]
	s_cbranch_execz .LBB7_22
; %bb.21:                               ;   in Loop: Header=BB7_9 Depth=1
	v_lshlrev_b32_e32 v3, 2, v3
	ds_read_b32 v28, v3 offset:520
.LBB7_22:                               ;   in Loop: Header=BB7_9 Depth=1
	s_andn2_saveexec_b64 s[4:5], s[4:5]
	s_cbranch_execz .LBB7_24
; %bb.23:                               ;   in Loop: Header=BB7_9 Depth=1
	s_waitcnt lgkmcnt(0)
	v_add_u32_e32 v28, 15, v2
.LBB7_24:                               ;   in Loop: Header=BB7_9 Depth=1
	s_or_b64 exec, exec, s[4:5]
	v_lshlrev_b32_e32 v3, 1, v27
	ds_read_u16 v26, v3
	s_waitcnt lgkmcnt(1)
	v_add_u32_e32 v34, -1, v28
	v_mov_b32_e32 v3, v27
.LBB7_25:                               ;   in Loop: Header=BB7_9 Depth=1
	s_or_b64 exec, exec, s[2:3]
	v_add_u32_e32 v27, 2, v2
	v_cmp_eq_u32_e32 vcc, v27, v34
	s_waitcnt lgkmcnt(0)
	v_mov_b32_e32 v27, v26
	s_and_saveexec_b64 s[2:3], vcc
	s_cbranch_execz .LBB7_31
; %bb.26:                               ;   in Loop: Header=BB7_9 Depth=1
	v_add_u32_e32 v28, 1, v3
	v_cmp_ne_u32_e32 vcc, s7, v28
                                        ; implicit-def: $vgpr29
	s_and_saveexec_b64 s[4:5], vcc
	s_xor_b64 s[4:5], exec, s[4:5]
	s_cbranch_execz .LBB7_28
; %bb.27:                               ;   in Loop: Header=BB7_9 Depth=1
	v_lshlrev_b32_e32 v3, 2, v3
	ds_read_b32 v29, v3 offset:520
.LBB7_28:                               ;   in Loop: Header=BB7_9 Depth=1
	s_andn2_saveexec_b64 s[4:5], s[4:5]
	s_cbranch_execz .LBB7_30
; %bb.29:                               ;   in Loop: Header=BB7_9 Depth=1
	s_waitcnt lgkmcnt(0)
	v_add_u32_e32 v29, 16, v2
.LBB7_30:                               ;   in Loop: Header=BB7_9 Depth=1
	s_or_b64 exec, exec, s[4:5]
	v_lshlrev_b32_e32 v3, 1, v28
	ds_read_u16 v27, v3
	s_waitcnt lgkmcnt(1)
	v_add_u32_e32 v34, -1, v29
	v_mov_b32_e32 v3, v28
.LBB7_31:                               ;   in Loop: Header=BB7_9 Depth=1
	s_or_b64 exec, exec, s[2:3]
	v_add_u32_e32 v28, 3, v2
	v_cmp_eq_u32_e32 vcc, v28, v34
	s_waitcnt lgkmcnt(0)
	v_mov_b32_e32 v28, v27
	s_and_saveexec_b64 s[2:3], vcc
	s_cbranch_execz .LBB7_37
; %bb.32:                               ;   in Loop: Header=BB7_9 Depth=1
	v_add_u32_e32 v29, 1, v3
	v_cmp_ne_u32_e32 vcc, s7, v29
                                        ; implicit-def: $vgpr30
	s_and_saveexec_b64 s[4:5], vcc
	s_xor_b64 s[4:5], exec, s[4:5]
	s_cbranch_execz .LBB7_34
; %bb.33:                               ;   in Loop: Header=BB7_9 Depth=1
	v_lshlrev_b32_e32 v3, 2, v3
	ds_read_b32 v30, v3 offset:520
.LBB7_34:                               ;   in Loop: Header=BB7_9 Depth=1
	s_andn2_saveexec_b64 s[4:5], s[4:5]
	s_cbranch_execz .LBB7_36
; %bb.35:                               ;   in Loop: Header=BB7_9 Depth=1
	s_waitcnt lgkmcnt(0)
	v_add_u32_e32 v30, 17, v2
.LBB7_36:                               ;   in Loop: Header=BB7_9 Depth=1
	s_or_b64 exec, exec, s[4:5]
	v_lshlrev_b32_e32 v3, 1, v29
	ds_read_u16 v28, v3
	s_waitcnt lgkmcnt(1)
	v_add_u32_e32 v34, -1, v30
	v_mov_b32_e32 v3, v29
.LBB7_37:                               ;   in Loop: Header=BB7_9 Depth=1
	s_or_b64 exec, exec, s[2:3]
	v_add_u32_e32 v29, 4, v2
	v_cmp_eq_u32_e32 vcc, v29, v34
	s_waitcnt lgkmcnt(0)
	v_mov_b32_e32 v29, v28
	s_and_saveexec_b64 s[2:3], vcc
	s_cbranch_execz .LBB7_43
; %bb.38:                               ;   in Loop: Header=BB7_9 Depth=1
	v_add_u32_e32 v30, 1, v3
	v_cmp_ne_u32_e32 vcc, s7, v30
                                        ; implicit-def: $vgpr31
	s_and_saveexec_b64 s[4:5], vcc
	s_xor_b64 s[4:5], exec, s[4:5]
	s_cbranch_execz .LBB7_40
; %bb.39:                               ;   in Loop: Header=BB7_9 Depth=1
	v_lshlrev_b32_e32 v3, 2, v3
	ds_read_b32 v31, v3 offset:520
.LBB7_40:                               ;   in Loop: Header=BB7_9 Depth=1
	s_andn2_saveexec_b64 s[4:5], s[4:5]
	s_cbranch_execz .LBB7_42
; %bb.41:                               ;   in Loop: Header=BB7_9 Depth=1
	s_waitcnt lgkmcnt(0)
	v_add_u32_e32 v31, 18, v2
.LBB7_42:                               ;   in Loop: Header=BB7_9 Depth=1
	s_or_b64 exec, exec, s[4:5]
	v_lshlrev_b32_e32 v3, 1, v30
	ds_read_u16 v29, v3
	s_waitcnt lgkmcnt(1)
	v_add_u32_e32 v34, -1, v31
	v_mov_b32_e32 v3, v30
.LBB7_43:                               ;   in Loop: Header=BB7_9 Depth=1
	s_or_b64 exec, exec, s[2:3]
	v_add_u32_e32 v30, 5, v2
	v_cmp_eq_u32_e32 vcc, v30, v34
	s_waitcnt lgkmcnt(0)
	v_mov_b32_e32 v30, v29
	s_and_saveexec_b64 s[2:3], vcc
	s_cbranch_execz .LBB7_49
; %bb.44:                               ;   in Loop: Header=BB7_9 Depth=1
	v_add_u32_e32 v31, 1, v3
	v_cmp_ne_u32_e32 vcc, s7, v31
                                        ; implicit-def: $vgpr32
	s_and_saveexec_b64 s[4:5], vcc
	s_xor_b64 s[4:5], exec, s[4:5]
	s_cbranch_execz .LBB7_46
; %bb.45:                               ;   in Loop: Header=BB7_9 Depth=1
	v_lshlrev_b32_e32 v3, 2, v3
	ds_read_b32 v32, v3 offset:520
.LBB7_46:                               ;   in Loop: Header=BB7_9 Depth=1
	s_andn2_saveexec_b64 s[4:5], s[4:5]
	s_cbranch_execz .LBB7_48
; %bb.47:                               ;   in Loop: Header=BB7_9 Depth=1
	s_waitcnt lgkmcnt(0)
	v_add_u32_e32 v32, 19, v2
.LBB7_48:                               ;   in Loop: Header=BB7_9 Depth=1
	s_or_b64 exec, exec, s[4:5]
	v_lshlrev_b32_e32 v3, 1, v31
	ds_read_u16 v30, v3
	s_waitcnt lgkmcnt(1)
	v_add_u32_e32 v34, -1, v32
	v_mov_b32_e32 v3, v31
.LBB7_49:                               ;   in Loop: Header=BB7_9 Depth=1
	s_or_b64 exec, exec, s[2:3]
	v_add_u32_e32 v31, 6, v2
	v_cmp_eq_u32_e32 vcc, v31, v34
	s_waitcnt lgkmcnt(0)
	v_mov_b32_e32 v31, v30
	s_and_saveexec_b64 s[2:3], vcc
	s_cbranch_execz .LBB7_55
; %bb.50:                               ;   in Loop: Header=BB7_9 Depth=1
	v_add_u32_e32 v32, 1, v3
	v_cmp_ne_u32_e32 vcc, s7, v32
                                        ; implicit-def: $vgpr33
	s_and_saveexec_b64 s[4:5], vcc
	s_xor_b64 s[4:5], exec, s[4:5]
	s_cbranch_execz .LBB7_52
; %bb.51:                               ;   in Loop: Header=BB7_9 Depth=1
	v_lshlrev_b32_e32 v3, 2, v3
	ds_read_b32 v33, v3 offset:520
.LBB7_52:                               ;   in Loop: Header=BB7_9 Depth=1
	s_andn2_saveexec_b64 s[4:5], s[4:5]
	s_cbranch_execz .LBB7_54
; %bb.53:                               ;   in Loop: Header=BB7_9 Depth=1
	s_waitcnt lgkmcnt(0)
	v_add_u32_e32 v33, 20, v2
.LBB7_54:                               ;   in Loop: Header=BB7_9 Depth=1
	s_or_b64 exec, exec, s[4:5]
	v_lshlrev_b32_e32 v3, 1, v32
	ds_read_u16 v31, v3
	s_waitcnt lgkmcnt(1)
	v_add_u32_e32 v34, -1, v33
	v_mov_b32_e32 v3, v32
.LBB7_55:                               ;   in Loop: Header=BB7_9 Depth=1
	s_or_b64 exec, exec, s[2:3]
	v_add_u32_e32 v32, 7, v2
	v_cmp_eq_u32_e32 vcc, v32, v34
	s_waitcnt lgkmcnt(0)
	v_mov_b32_e32 v32, v31
	s_and_saveexec_b64 s[2:3], vcc
	s_cbranch_execz .LBB7_61
; %bb.56:                               ;   in Loop: Header=BB7_9 Depth=1
	v_add_u32_e32 v33, 1, v3
	v_cmp_ne_u32_e32 vcc, s7, v33
                                        ; implicit-def: $vgpr34
	s_and_saveexec_b64 s[4:5], vcc
	s_xor_b64 s[4:5], exec, s[4:5]
	s_cbranch_execz .LBB7_58
; %bb.57:                               ;   in Loop: Header=BB7_9 Depth=1
	v_lshlrev_b32_e32 v3, 2, v3
	ds_read_b32 v34, v3 offset:520
.LBB7_58:                               ;   in Loop: Header=BB7_9 Depth=1
	s_andn2_saveexec_b64 s[4:5], s[4:5]
	s_cbranch_execz .LBB7_60
; %bb.59:                               ;   in Loop: Header=BB7_9 Depth=1
	s_waitcnt lgkmcnt(0)
	v_add_u32_e32 v34, 21, v2
.LBB7_60:                               ;   in Loop: Header=BB7_9 Depth=1
	s_or_b64 exec, exec, s[4:5]
	v_lshlrev_b32_e32 v3, 1, v33
	ds_read_u16 v32, v3
	s_waitcnt lgkmcnt(1)
	v_add_u32_e32 v34, -1, v34
	v_mov_b32_e32 v3, v33
.LBB7_61:                               ;   in Loop: Header=BB7_9 Depth=1
	s_or_b64 exec, exec, s[2:3]
	v_add_u32_e32 v33, 8, v2
	v_cmp_eq_u32_e32 vcc, v33, v34
	s_waitcnt lgkmcnt(0)
	v_mov_b32_e32 v33, v32
	s_and_saveexec_b64 s[2:3], vcc
	s_cbranch_execz .LBB7_67
; %bb.62:                               ;   in Loop: Header=BB7_9 Depth=1
	v_add_u32_e32 v35, 1, v3
	v_cmp_ne_u32_e32 vcc, s7, v35
                                        ; implicit-def: $vgpr34
	s_and_saveexec_b64 s[4:5], vcc
	s_xor_b64 s[4:5], exec, s[4:5]
	s_cbranch_execz .LBB7_64
; %bb.63:                               ;   in Loop: Header=BB7_9 Depth=1
	v_lshlrev_b32_e32 v3, 2, v3
	ds_read_b32 v34, v3 offset:520
.LBB7_64:                               ;   in Loop: Header=BB7_9 Depth=1
	s_andn2_saveexec_b64 s[4:5], s[4:5]
	s_cbranch_execz .LBB7_66
; %bb.65:                               ;   in Loop: Header=BB7_9 Depth=1
	s_waitcnt lgkmcnt(0)
	v_add_u32_e32 v34, 22, v2
.LBB7_66:                               ;   in Loop: Header=BB7_9 Depth=1
	s_or_b64 exec, exec, s[4:5]
	v_lshlrev_b32_e32 v3, 1, v35
	ds_read_u16 v33, v3
	s_waitcnt lgkmcnt(1)
	v_add_u32_e32 v34, -1, v34
	v_mov_b32_e32 v3, v35
.LBB7_67:                               ;   in Loop: Header=BB7_9 Depth=1
	;; [unrolled: 31-line block ×5, first 2 shown]
	s_or_b64 exec, exec, s[2:3]
	v_add_u32_e32 v2, 12, v2
	v_cmp_eq_u32_e32 vcc, v2, v34
	s_waitcnt lgkmcnt(0)
	v_mov_b32_e32 v34, v37
	s_and_saveexec_b64 s[2:3], vcc
	s_cbranch_execz .LBB7_87
; %bb.86:                               ;   in Loop: Header=BB7_9 Depth=1
	v_lshlrev_b32_e32 v2, 1, v3
	ds_read_u16 v34, v2 offset:2
.LBB7_87:                               ;   in Loop: Header=BB7_9 Depth=1
	s_or_b64 exec, exec, s[2:3]
	s_lshl_b64 s[2:3], s[0:1], 1
	v_mov_b32_e32 v3, s3
	v_add_co_u32_e32 v2, vcc, s2, v1
	s_min_u32 s4, s8, 0xe00
	v_addc_co_u32_e32 v3, vcc, v6, v3, vcc
	v_cmp_gt_u32_e32 vcc, s4, v0
	s_and_saveexec_b64 s[2:3], vcc
	s_cbranch_execnz .LBB7_101
; %bb.88:                               ;   in Loop: Header=BB7_9 Depth=1
	s_or_b64 exec, exec, s[2:3]
	v_cmp_gt_u32_e32 vcc, s4, v7
	s_and_saveexec_b64 s[2:3], vcc
	s_cbranch_execnz .LBB7_102
.LBB7_89:                               ;   in Loop: Header=BB7_9 Depth=1
	s_or_b64 exec, exec, s[2:3]
	v_cmp_gt_u32_e32 vcc, s4, v8
	s_and_saveexec_b64 s[2:3], vcc
	s_cbranch_execnz .LBB7_103
.LBB7_90:                               ;   in Loop: Header=BB7_9 Depth=1
	s_or_b64 exec, exec, s[2:3]
	v_cmp_gt_u32_e32 vcc, s4, v9
	s_and_saveexec_b64 s[2:3], vcc
	s_cbranch_execnz .LBB7_104
.LBB7_91:                               ;   in Loop: Header=BB7_9 Depth=1
	s_or_b64 exec, exec, s[2:3]
	v_cmp_gt_u32_e32 vcc, s4, v10
	s_and_saveexec_b64 s[2:3], vcc
	s_cbranch_execnz .LBB7_105
.LBB7_92:                               ;   in Loop: Header=BB7_9 Depth=1
	s_or_b64 exec, exec, s[2:3]
	v_cmp_gt_u32_e32 vcc, s4, v11
	s_and_saveexec_b64 s[2:3], vcc
	s_cbranch_execnz .LBB7_106
.LBB7_93:                               ;   in Loop: Header=BB7_9 Depth=1
	s_or_b64 exec, exec, s[2:3]
	v_cmp_gt_u32_e32 vcc, s4, v12
	s_and_saveexec_b64 s[2:3], vcc
	s_cbranch_execnz .LBB7_107
.LBB7_94:                               ;   in Loop: Header=BB7_9 Depth=1
	s_or_b64 exec, exec, s[2:3]
	v_cmp_gt_u32_e32 vcc, s4, v13
	s_and_saveexec_b64 s[2:3], vcc
	s_cbranch_execnz .LBB7_108
.LBB7_95:                               ;   in Loop: Header=BB7_9 Depth=1
	s_or_b64 exec, exec, s[2:3]
	v_cmp_gt_u32_e32 vcc, s4, v14
	s_and_saveexec_b64 s[2:3], vcc
	s_cbranch_execnz .LBB7_109
.LBB7_96:                               ;   in Loop: Header=BB7_9 Depth=1
	s_or_b64 exec, exec, s[2:3]
	v_cmp_gt_u32_e32 vcc, s4, v15
	s_and_saveexec_b64 s[2:3], vcc
	s_cbranch_execnz .LBB7_110
.LBB7_97:                               ;   in Loop: Header=BB7_9 Depth=1
	s_or_b64 exec, exec, s[2:3]
	v_cmp_gt_u32_e32 vcc, s4, v16
	s_and_saveexec_b64 s[2:3], vcc
	s_cbranch_execnz .LBB7_111
.LBB7_98:                               ;   in Loop: Header=BB7_9 Depth=1
	s_or_b64 exec, exec, s[2:3]
	v_cmp_gt_u32_e32 vcc, s4, v17
	s_and_saveexec_b64 s[2:3], vcc
	s_cbranch_execnz .LBB7_112
.LBB7_99:                               ;   in Loop: Header=BB7_9 Depth=1
	s_or_b64 exec, exec, s[2:3]
	v_cmp_gt_u32_e32 vcc, s4, v18
	s_and_saveexec_b64 s[2:3], vcc
	s_cbranch_execnz .LBB7_113
.LBB7_100:                              ;   in Loop: Header=BB7_9 Depth=1
	s_or_b64 exec, exec, s[2:3]
	v_cmp_gt_u32_e32 vcc, s4, v19
	s_and_saveexec_b64 s[2:3], vcc
	s_cbranch_execz .LBB7_8
	s_branch .LBB7_114
.LBB7_101:                              ;   in Loop: Header=BB7_9 Depth=1
	global_store_short v[2:3], v24, off
	s_or_b64 exec, exec, s[2:3]
	v_cmp_gt_u32_e32 vcc, s4, v7
	s_and_saveexec_b64 s[2:3], vcc
	s_cbranch_execz .LBB7_89
.LBB7_102:                              ;   in Loop: Header=BB7_9 Depth=1
	global_store_short v[2:3], v25, off offset:2
	s_or_b64 exec, exec, s[2:3]
	v_cmp_gt_u32_e32 vcc, s4, v8
	s_and_saveexec_b64 s[2:3], vcc
	s_cbranch_execz .LBB7_90
.LBB7_103:                              ;   in Loop: Header=BB7_9 Depth=1
	global_store_short v[2:3], v26, off offset:4
	s_or_b64 exec, exec, s[2:3]
	v_cmp_gt_u32_e32 vcc, s4, v9
	s_and_saveexec_b64 s[2:3], vcc
	s_cbranch_execz .LBB7_91
.LBB7_104:                              ;   in Loop: Header=BB7_9 Depth=1
	global_store_short v[2:3], v27, off offset:6
	s_or_b64 exec, exec, s[2:3]
	v_cmp_gt_u32_e32 vcc, s4, v10
	s_and_saveexec_b64 s[2:3], vcc
	s_cbranch_execz .LBB7_92
.LBB7_105:                              ;   in Loop: Header=BB7_9 Depth=1
	global_store_short v[2:3], v28, off offset:8
	s_or_b64 exec, exec, s[2:3]
	v_cmp_gt_u32_e32 vcc, s4, v11
	s_and_saveexec_b64 s[2:3], vcc
	s_cbranch_execz .LBB7_93
.LBB7_106:                              ;   in Loop: Header=BB7_9 Depth=1
	global_store_short v[2:3], v29, off offset:10
	s_or_b64 exec, exec, s[2:3]
	v_cmp_gt_u32_e32 vcc, s4, v12
	s_and_saveexec_b64 s[2:3], vcc
	s_cbranch_execz .LBB7_94
.LBB7_107:                              ;   in Loop: Header=BB7_9 Depth=1
	global_store_short v[2:3], v30, off offset:12
	s_or_b64 exec, exec, s[2:3]
	v_cmp_gt_u32_e32 vcc, s4, v13
	s_and_saveexec_b64 s[2:3], vcc
	s_cbranch_execz .LBB7_95
.LBB7_108:                              ;   in Loop: Header=BB7_9 Depth=1
	global_store_short v[2:3], v31, off offset:14
	s_or_b64 exec, exec, s[2:3]
	v_cmp_gt_u32_e32 vcc, s4, v14
	s_and_saveexec_b64 s[2:3], vcc
	s_cbranch_execz .LBB7_96
.LBB7_109:                              ;   in Loop: Header=BB7_9 Depth=1
	global_store_short v[2:3], v32, off offset:16
	s_or_b64 exec, exec, s[2:3]
	v_cmp_gt_u32_e32 vcc, s4, v15
	s_and_saveexec_b64 s[2:3], vcc
	s_cbranch_execz .LBB7_97
.LBB7_110:                              ;   in Loop: Header=BB7_9 Depth=1
	global_store_short v[2:3], v33, off offset:18
	s_or_b64 exec, exec, s[2:3]
	v_cmp_gt_u32_e32 vcc, s4, v16
	s_and_saveexec_b64 s[2:3], vcc
	s_cbranch_execz .LBB7_98
.LBB7_111:                              ;   in Loop: Header=BB7_9 Depth=1
	global_store_short v[2:3], v35, off offset:20
	s_or_b64 exec, exec, s[2:3]
	v_cmp_gt_u32_e32 vcc, s4, v17
	s_and_saveexec_b64 s[2:3], vcc
	s_cbranch_execz .LBB7_99
.LBB7_112:                              ;   in Loop: Header=BB7_9 Depth=1
	global_store_short v[2:3], v36, off offset:22
	s_or_b64 exec, exec, s[2:3]
	v_cmp_gt_u32_e32 vcc, s4, v18
	s_and_saveexec_b64 s[2:3], vcc
	s_cbranch_execz .LBB7_100
.LBB7_113:                              ;   in Loop: Header=BB7_9 Depth=1
	global_store_short v[2:3], v37, off offset:24
	s_or_b64 exec, exec, s[2:3]
	v_cmp_gt_u32_e32 vcc, s4, v19
	s_and_saveexec_b64 s[2:3], vcc
	s_cbranch_execz .LBB7_8
.LBB7_114:                              ;   in Loop: Header=BB7_9 Depth=1
	s_waitcnt lgkmcnt(0)
	global_store_short v[2:3], v34, off offset:26
	s_branch .LBB7_8
.LBB7_115:
	s_endpgm
	.section	.rodata,"a",@progbits
	.p2align	6, 0x0
	.amdhsa_kernel _Z30block_run_length_decode_kernelI6__halfiLj256ELj1ELj14EEvPKT_PKT0_PS1_
		.amdhsa_group_segment_fixed_size 1536
		.amdhsa_private_segment_fixed_size 0
		.amdhsa_kernarg_size 24
		.amdhsa_user_sgpr_count 6
		.amdhsa_user_sgpr_private_segment_buffer 1
		.amdhsa_user_sgpr_dispatch_ptr 0
		.amdhsa_user_sgpr_queue_ptr 0
		.amdhsa_user_sgpr_kernarg_segment_ptr 1
		.amdhsa_user_sgpr_dispatch_id 0
		.amdhsa_user_sgpr_flat_scratch_init 0
		.amdhsa_user_sgpr_kernarg_preload_length 0
		.amdhsa_user_sgpr_kernarg_preload_offset 0
		.amdhsa_user_sgpr_private_segment_size 0
		.amdhsa_uses_dynamic_stack 0
		.amdhsa_system_sgpr_private_segment_wavefront_offset 0
		.amdhsa_system_sgpr_workgroup_id_x 1
		.amdhsa_system_sgpr_workgroup_id_y 0
		.amdhsa_system_sgpr_workgroup_id_z 0
		.amdhsa_system_sgpr_workgroup_info 0
		.amdhsa_system_vgpr_workitem_id 0
		.amdhsa_next_free_vgpr 39
		.amdhsa_next_free_sgpr 9
		.amdhsa_accum_offset 40
		.amdhsa_reserve_vcc 1
		.amdhsa_reserve_flat_scratch 0
		.amdhsa_float_round_mode_32 0
		.amdhsa_float_round_mode_16_64 0
		.amdhsa_float_denorm_mode_32 3
		.amdhsa_float_denorm_mode_16_64 3
		.amdhsa_dx10_clamp 1
		.amdhsa_ieee_mode 1
		.amdhsa_fp16_overflow 0
		.amdhsa_tg_split 0
		.amdhsa_exception_fp_ieee_invalid_op 0
		.amdhsa_exception_fp_denorm_src 0
		.amdhsa_exception_fp_ieee_div_zero 0
		.amdhsa_exception_fp_ieee_overflow 0
		.amdhsa_exception_fp_ieee_underflow 0
		.amdhsa_exception_fp_ieee_inexact 0
		.amdhsa_exception_int_div_zero 0
	.end_amdhsa_kernel
	.section	.text._Z30block_run_length_decode_kernelI6__halfiLj256ELj1ELj14EEvPKT_PKT0_PS1_,"axG",@progbits,_Z30block_run_length_decode_kernelI6__halfiLj256ELj1ELj14EEvPKT_PKT0_PS1_,comdat
.Lfunc_end7:
	.size	_Z30block_run_length_decode_kernelI6__halfiLj256ELj1ELj14EEvPKT_PKT0_PS1_, .Lfunc_end7-_Z30block_run_length_decode_kernelI6__halfiLj256ELj1ELj14EEvPKT_PKT0_PS1_
                                        ; -- End function
	.section	.AMDGPU.csdata,"",@progbits
; Kernel info:
; codeLenInByte = 3152
; NumSgprs: 13
; NumVgprs: 39
; NumAgprs: 0
; TotalNumVgprs: 39
; ScratchSize: 0
; MemoryBound: 0
; FloatMode: 240
; IeeeMode: 1
; LDSByteSize: 1536 bytes/workgroup (compile time only)
; SGPRBlocks: 1
; VGPRBlocks: 4
; NumSGPRsForWavesPerEU: 13
; NumVGPRsForWavesPerEU: 39
; AccumOffset: 40
; Occupancy: 8
; WaveLimiterHint : 0
; COMPUTE_PGM_RSRC2:SCRATCH_EN: 0
; COMPUTE_PGM_RSRC2:USER_SGPR: 6
; COMPUTE_PGM_RSRC2:TRAP_HANDLER: 0
; COMPUTE_PGM_RSRC2:TGID_X_EN: 1
; COMPUTE_PGM_RSRC2:TGID_Y_EN: 0
; COMPUTE_PGM_RSRC2:TGID_Z_EN: 0
; COMPUTE_PGM_RSRC2:TIDIG_COMP_CNT: 0
; COMPUTE_PGM_RSRC3_GFX90A:ACCUM_OFFSET: 9
; COMPUTE_PGM_RSRC3_GFX90A:TG_SPLIT: 0
	.section	.text._Z30block_run_length_decode_kernelIfiLj256ELj1ELj14EEvPKT_PKT0_PS0_,"axG",@progbits,_Z30block_run_length_decode_kernelIfiLj256ELj1ELj14EEvPKT_PKT0_PS0_,comdat
	.protected	_Z30block_run_length_decode_kernelIfiLj256ELj1ELj14EEvPKT_PKT0_PS0_ ; -- Begin function _Z30block_run_length_decode_kernelIfiLj256ELj1ELj14EEvPKT_PKT0_PS0_
	.globl	_Z30block_run_length_decode_kernelIfiLj256ELj1ELj14EEvPKT_PKT0_PS0_
	.p2align	8
	.type	_Z30block_run_length_decode_kernelIfiLj256ELj1ELj14EEvPKT_PKT0_PS0_,@function
_Z30block_run_length_decode_kernelIfiLj256ELj1ELj14EEvPKT_PKT0_PS0_: ; @_Z30block_run_length_decode_kernelIfiLj256ELj1ELj14EEvPKT_PKT0_PS0_
; %bb.0:
	s_load_dwordx4 s[0:3], s[4:5], 0x0
	v_lshl_or_b32 v2, s6, 8, v0
	v_mov_b32_e32 v3, 0
	v_lshlrev_b64 v[4:5], 2, v[2:3]
	v_mbcnt_lo_u32_b32 v3, -1, 0
	s_waitcnt lgkmcnt(0)
	v_mov_b32_e32 v1, s3
	v_add_co_u32_e32 v6, vcc, s2, v4
	v_addc_co_u32_e32 v7, vcc, v1, v5, vcc
	global_load_dword v6, v[6:7], off
	v_mov_b32_e32 v1, s1
	v_add_co_u32_e32 v4, vcc, s0, v4
	v_addc_co_u32_e32 v5, vcc, v1, v5, vcc
	global_load_dword v1, v[4:5], off
	v_mbcnt_hi_u32_b32 v3, -1, v3
	v_and_b32_e32 v7, 15, v3
	v_cmp_ne_u32_e32 vcc, 0, v7
	v_bfe_i32 v8, v3, 4, 1
	v_or_b32_e32 v5, 63, v0
	v_lshrrev_b32_e32 v4, 6, v0
	s_waitcnt vmcnt(1)
	v_mov_b32_dpp v9, v6 row_shr:1 row_mask:0xf bank_mask:0xf
	v_cndmask_b32_e32 v9, 0, v9, vcc
	v_add_u32_e32 v6, v9, v6
	v_cmp_lt_u32_e32 vcc, 1, v7
	s_nop 0
	v_mov_b32_dpp v9, v6 row_shr:2 row_mask:0xf bank_mask:0xf
	v_cndmask_b32_e32 v9, 0, v9, vcc
	v_add_u32_e32 v6, v6, v9
	v_cmp_lt_u32_e32 vcc, 3, v7
	s_nop 0
	;; [unrolled: 5-line block ×4, first 2 shown]
	v_mov_b32_dpp v7, v6 row_bcast:15 row_mask:0xf bank_mask:0xf
	v_and_b32_e32 v7, v8, v7
	v_add_u32_e32 v6, v6, v7
	s_nop 1
	v_mov_b32_dpp v7, v6 row_bcast:31 row_mask:0xf bank_mask:0xf
	v_cndmask_b32_e32 v7, 0, v7, vcc
	v_add_u32_e32 v6, v6, v7
	v_cmp_eq_u32_e32 vcc, v5, v0
	s_and_saveexec_b64 s[0:1], vcc
	s_cbranch_execz .LBB8_2
; %bb.1:
	v_lshlrev_b32_e32 v5, 2, v4
	ds_write_b32 v5, v6
.LBB8_2:
	s_or_b64 exec, exec, s[0:1]
	v_cmp_gt_u32_e32 vcc, 4, v0
	v_lshlrev_b32_e32 v5, 2, v0
	s_waitcnt lgkmcnt(0)
	s_barrier
	s_and_saveexec_b64 s[0:1], vcc
	s_cbranch_execz .LBB8_4
; %bb.3:
	ds_read_b32 v7, v5
	v_and_b32_e32 v8, 3, v3
	v_cmp_ne_u32_e32 vcc, 0, v8
	s_waitcnt lgkmcnt(0)
	v_mov_b32_dpp v9, v7 row_shr:1 row_mask:0xf bank_mask:0xf
	v_cndmask_b32_e32 v9, 0, v9, vcc
	v_add_u32_e32 v7, v9, v7
	v_cmp_lt_u32_e32 vcc, 1, v8
	s_nop 0
	v_mov_b32_dpp v9, v7 row_shr:2 row_mask:0xf bank_mask:0xf
	v_cndmask_b32_e32 v8, 0, v9, vcc
	v_add_u32_e32 v7, v7, v8
	ds_write_b32 v5, v7
.LBB8_4:
	s_or_b64 exec, exec, s[0:1]
	v_cmp_lt_u32_e32 vcc, 63, v0
	v_mov_b32_e32 v7, 0
	v_mov_b32_e32 v8, 0
	s_waitcnt lgkmcnt(0)
	s_barrier
	s_and_saveexec_b64 s[0:1], vcc
	s_cbranch_execz .LBB8_6
; %bb.5:
	v_lshl_add_u32 v4, v4, 2, -4
	ds_read_b32 v8, v4
.LBB8_6:
	s_or_b64 exec, exec, s[0:1]
	s_waitcnt lgkmcnt(0)
	v_add_u32_e32 v4, v8, v6
	v_add_u32_e32 v6, -1, v3
	v_and_b32_e32 v9, 64, v3
	v_cmp_lt_i32_e32 vcc, v6, v9
	v_cndmask_b32_e32 v6, v6, v3, vcc
	v_lshlrev_b32_e32 v6, 2, v6
	ds_bpermute_b32 v4, v6, v4
	ds_read_b32 v6, v7 offset:12
	v_cmp_eq_u32_e32 vcc, 0, v3
	s_mov_b32 s1, 0
	s_waitcnt lgkmcnt(0)
	v_cndmask_b32_e32 v3, v4, v8, vcc
	v_cmp_eq_u32_e32 vcc, 0, v6
	v_readfirstlane_b32 s6, v6
	s_and_b64 vcc, exec, vcc
	s_barrier
	s_waitcnt vmcnt(0)
	ds_write2st64_b32 v5, v1, v3 offset1:4
	s_waitcnt lgkmcnt(0)
	s_barrier
	s_cbranch_vccnz .LBB8_115
; %bb.7:
	s_load_dwordx2 s[2:3], s[4:5], 0x10
	v_mov_b32_e32 v1, 0
	ds_read_b32 v5, v1 offset:1536
	v_mul_u32_u24_e32 v4, 14, v0
	v_mul_lo_u32 v0, v2, 14
	v_lshlrev_b64 v[2:3], 2, v[0:1]
	s_waitcnt lgkmcnt(0)
	v_mov_b32_e32 v6, s3
	v_add_co_u32_e32 v1, vcc, s2, v2
	v_addc_co_u32_e32 v6, vcc, v6, v3, vcc
	v_or_b32_e32 v7, 1, v0
	v_add_u32_e32 v8, 2, v0
	v_add_u32_e32 v9, 3, v0
	;; [unrolled: 1-line block ×12, first 2 shown]
	v_mov_b32_e32 v20, 0x81
	v_mov_b32_e32 v21, 0x100
	;; [unrolled: 1-line block ×4, first 2 shown]
	s_movk_i32 s7, 0xff
	s_mov_b32 s8, s6
	s_mov_b32 s0, s1
	s_branch .LBB8_9
.LBB8_8:                                ;   in Loop: Header=BB8_9 Depth=1
	s_or_b64 exec, exec, s[2:3]
	s_addk_i32 s0, 0xe00
	s_addk_i32 s8, 0xf200
	s_cmp_lt_u32 s0, s6
	s_cbranch_scc0 .LBB8_115
.LBB8_9:                                ; =>This Inner Loop Header: Depth=1
	v_add_u32_e32 v2, s0, v4
	v_cmp_gt_u32_e32 vcc, v5, v2
	v_cndmask_b32_e64 v24, v23, 64, vcc
	v_lshlrev_b32_e32 v25, 2, v24
	ds_read_b32 v25, v25 offset:1024
	v_cndmask_b32_e64 v3, v20, 0, vcc
	v_cndmask_b32_e32 v26, v21, v22, vcc
	v_or_b32_e32 v27, 1, v24
	s_waitcnt lgkmcnt(0)
	v_cmp_gt_u32_e32 vcc, v25, v2
	v_cndmask_b32_e32 v3, v27, v3, vcc
	v_cndmask_b32_e32 v24, v26, v24, vcc
	v_sub_u32_e32 v25, v24, v3
	v_lshrrev_b16_e32 v26, 15, v25
	v_add_u16_e32 v25, v25, v26
	v_ashrrev_i16_e32 v25, 1, v25
	v_add_u32_sdwa v25, v3, sext(v25) dst_sel:DWORD dst_unused:UNUSED_PAD src0_sel:DWORD src1_sel:WORD_0
	v_min_i32_e32 v25, 0xff, v25
	v_lshlrev_b32_e32 v26, 2, v25
	ds_read_b32 v26, v26 offset:1024
	v_add_u32_e32 v27, 1, v25
	s_waitcnt lgkmcnt(0)
	v_cmp_gt_u32_e32 vcc, v26, v2
	v_cndmask_b32_e32 v3, v27, v3, vcc
	v_cndmask_b32_e32 v24, v24, v25, vcc
	v_sub_u32_e32 v25, v24, v3
	v_lshrrev_b16_e32 v26, 15, v25
	v_add_u16_e32 v25, v25, v26
	v_ashrrev_i16_e32 v25, 1, v25
	v_add_u32_sdwa v25, v3, sext(v25) dst_sel:DWORD dst_unused:UNUSED_PAD src0_sel:DWORD src1_sel:WORD_0
	v_min_i32_e32 v25, 0xff, v25
	v_lshlrev_b32_e32 v26, 2, v25
	ds_read_b32 v26, v26 offset:1024
	v_add_u32_e32 v27, 1, v25
	;; [unrolled: 13-line block ×7, first 2 shown]
	s_waitcnt lgkmcnt(0)
	v_cmp_gt_u32_e32 vcc, v25, v2
	v_cndmask_b32_e32 v26, v24, v3, vcc
	v_add_u32_e32 v3, -1, v26
	v_cmp_ne_u32_e32 vcc, s7, v3
                                        ; implicit-def: $vgpr25
	s_and_saveexec_b64 s[2:3], vcc
	s_xor_b64 s[2:3], exec, s[2:3]
	s_cbranch_execz .LBB8_11
; %bb.10:                               ;   in Loop: Header=BB8_9 Depth=1
	v_lshlrev_b32_e32 v24, 2, v26
	ds_read_b32 v25, v24 offset:1024
.LBB8_11:                               ;   in Loop: Header=BB8_9 Depth=1
	s_andn2_saveexec_b64 s[2:3], s[2:3]
	s_cbranch_execz .LBB8_13
; %bb.12:                               ;   in Loop: Header=BB8_9 Depth=1
	s_waitcnt lgkmcnt(0)
	v_add_u32_e32 v25, 14, v2
.LBB8_13:                               ;   in Loop: Header=BB8_9 Depth=1
	s_or_b64 exec, exec, s[2:3]
	v_lshlrev_b32_e32 v24, 2, v3
	ds_read_b32 v24, v24
	s_waitcnt lgkmcnt(1)
	v_add_u32_e32 v34, -1, v25
	v_cmp_eq_u32_e32 vcc, v2, v34
	s_waitcnt lgkmcnt(0)
	v_mov_b32_e32 v25, v24
	s_and_saveexec_b64 s[2:3], vcc
	s_cbranch_execz .LBB8_19
; %bb.14:                               ;   in Loop: Header=BB8_9 Depth=1
	v_cmp_ne_u32_e32 vcc, s7, v26
	v_lshlrev_b32_e32 v3, 2, v26
                                        ; implicit-def: $vgpr27
	s_and_saveexec_b64 s[4:5], vcc
	s_xor_b64 s[4:5], exec, s[4:5]
	s_cbranch_execz .LBB8_16
; %bb.15:                               ;   in Loop: Header=BB8_9 Depth=1
	ds_read_b32 v27, v3 offset:1028
.LBB8_16:                               ;   in Loop: Header=BB8_9 Depth=1
	s_andn2_saveexec_b64 s[4:5], s[4:5]
	s_cbranch_execz .LBB8_18
; %bb.17:                               ;   in Loop: Header=BB8_9 Depth=1
	s_waitcnt lgkmcnt(0)
	v_add_u32_e32 v27, 14, v2
.LBB8_18:                               ;   in Loop: Header=BB8_9 Depth=1
	s_or_b64 exec, exec, s[4:5]
	ds_read_b32 v25, v3
	s_waitcnt lgkmcnt(1)
	v_add_u32_e32 v34, -1, v27
	v_mov_b32_e32 v3, v26
.LBB8_19:                               ;   in Loop: Header=BB8_9 Depth=1
	s_or_b64 exec, exec, s[2:3]
	v_add_u32_e32 v26, 1, v2
	v_cmp_eq_u32_e32 vcc, v26, v34
	s_waitcnt lgkmcnt(0)
	v_mov_b32_e32 v26, v25
	s_and_saveexec_b64 s[2:3], vcc
	s_cbranch_execz .LBB8_25
; %bb.20:                               ;   in Loop: Header=BB8_9 Depth=1
	v_add_u32_e32 v27, 1, v3
	v_cmp_ne_u32_e32 vcc, s7, v27
                                        ; implicit-def: $vgpr28
	s_and_saveexec_b64 s[4:5], vcc
	s_xor_b64 s[4:5], exec, s[4:5]
	s_cbranch_execz .LBB8_22
; %bb.21:                               ;   in Loop: Header=BB8_9 Depth=1
	v_lshlrev_b32_e32 v3, 2, v3
	ds_read_b32 v28, v3 offset:1032
.LBB8_22:                               ;   in Loop: Header=BB8_9 Depth=1
	s_andn2_saveexec_b64 s[4:5], s[4:5]
	s_cbranch_execz .LBB8_24
; %bb.23:                               ;   in Loop: Header=BB8_9 Depth=1
	s_waitcnt lgkmcnt(0)
	v_add_u32_e32 v28, 15, v2
.LBB8_24:                               ;   in Loop: Header=BB8_9 Depth=1
	s_or_b64 exec, exec, s[4:5]
	v_lshlrev_b32_e32 v3, 2, v27
	ds_read_b32 v26, v3
	s_waitcnt lgkmcnt(1)
	v_add_u32_e32 v34, -1, v28
	v_mov_b32_e32 v3, v27
.LBB8_25:                               ;   in Loop: Header=BB8_9 Depth=1
	s_or_b64 exec, exec, s[2:3]
	v_add_u32_e32 v27, 2, v2
	v_cmp_eq_u32_e32 vcc, v27, v34
	s_waitcnt lgkmcnt(0)
	v_mov_b32_e32 v27, v26
	s_and_saveexec_b64 s[2:3], vcc
	s_cbranch_execz .LBB8_31
; %bb.26:                               ;   in Loop: Header=BB8_9 Depth=1
	v_add_u32_e32 v28, 1, v3
	v_cmp_ne_u32_e32 vcc, s7, v28
                                        ; implicit-def: $vgpr29
	s_and_saveexec_b64 s[4:5], vcc
	s_xor_b64 s[4:5], exec, s[4:5]
	s_cbranch_execz .LBB8_28
; %bb.27:                               ;   in Loop: Header=BB8_9 Depth=1
	v_lshlrev_b32_e32 v3, 2, v3
	ds_read_b32 v29, v3 offset:1032
.LBB8_28:                               ;   in Loop: Header=BB8_9 Depth=1
	s_andn2_saveexec_b64 s[4:5], s[4:5]
	s_cbranch_execz .LBB8_30
; %bb.29:                               ;   in Loop: Header=BB8_9 Depth=1
	s_waitcnt lgkmcnt(0)
	v_add_u32_e32 v29, 16, v2
.LBB8_30:                               ;   in Loop: Header=BB8_9 Depth=1
	s_or_b64 exec, exec, s[4:5]
	v_lshlrev_b32_e32 v3, 2, v28
	ds_read_b32 v27, v3
	s_waitcnt lgkmcnt(1)
	v_add_u32_e32 v34, -1, v29
	v_mov_b32_e32 v3, v28
.LBB8_31:                               ;   in Loop: Header=BB8_9 Depth=1
	s_or_b64 exec, exec, s[2:3]
	v_add_u32_e32 v28, 3, v2
	v_cmp_eq_u32_e32 vcc, v28, v34
	s_waitcnt lgkmcnt(0)
	v_mov_b32_e32 v28, v27
	s_and_saveexec_b64 s[2:3], vcc
	s_cbranch_execz .LBB8_37
; %bb.32:                               ;   in Loop: Header=BB8_9 Depth=1
	v_add_u32_e32 v29, 1, v3
	v_cmp_ne_u32_e32 vcc, s7, v29
                                        ; implicit-def: $vgpr30
	s_and_saveexec_b64 s[4:5], vcc
	s_xor_b64 s[4:5], exec, s[4:5]
	s_cbranch_execz .LBB8_34
; %bb.33:                               ;   in Loop: Header=BB8_9 Depth=1
	v_lshlrev_b32_e32 v3, 2, v3
	ds_read_b32 v30, v3 offset:1032
.LBB8_34:                               ;   in Loop: Header=BB8_9 Depth=1
	s_andn2_saveexec_b64 s[4:5], s[4:5]
	s_cbranch_execz .LBB8_36
; %bb.35:                               ;   in Loop: Header=BB8_9 Depth=1
	s_waitcnt lgkmcnt(0)
	v_add_u32_e32 v30, 17, v2
.LBB8_36:                               ;   in Loop: Header=BB8_9 Depth=1
	s_or_b64 exec, exec, s[4:5]
	v_lshlrev_b32_e32 v3, 2, v29
	ds_read_b32 v28, v3
	s_waitcnt lgkmcnt(1)
	v_add_u32_e32 v34, -1, v30
	v_mov_b32_e32 v3, v29
.LBB8_37:                               ;   in Loop: Header=BB8_9 Depth=1
	s_or_b64 exec, exec, s[2:3]
	v_add_u32_e32 v29, 4, v2
	v_cmp_eq_u32_e32 vcc, v29, v34
	s_waitcnt lgkmcnt(0)
	v_mov_b32_e32 v29, v28
	s_and_saveexec_b64 s[2:3], vcc
	s_cbranch_execz .LBB8_43
; %bb.38:                               ;   in Loop: Header=BB8_9 Depth=1
	v_add_u32_e32 v30, 1, v3
	v_cmp_ne_u32_e32 vcc, s7, v30
                                        ; implicit-def: $vgpr31
	s_and_saveexec_b64 s[4:5], vcc
	s_xor_b64 s[4:5], exec, s[4:5]
	s_cbranch_execz .LBB8_40
; %bb.39:                               ;   in Loop: Header=BB8_9 Depth=1
	v_lshlrev_b32_e32 v3, 2, v3
	ds_read_b32 v31, v3 offset:1032
.LBB8_40:                               ;   in Loop: Header=BB8_9 Depth=1
	s_andn2_saveexec_b64 s[4:5], s[4:5]
	s_cbranch_execz .LBB8_42
; %bb.41:                               ;   in Loop: Header=BB8_9 Depth=1
	s_waitcnt lgkmcnt(0)
	v_add_u32_e32 v31, 18, v2
.LBB8_42:                               ;   in Loop: Header=BB8_9 Depth=1
	s_or_b64 exec, exec, s[4:5]
	v_lshlrev_b32_e32 v3, 2, v30
	ds_read_b32 v29, v3
	s_waitcnt lgkmcnt(1)
	v_add_u32_e32 v34, -1, v31
	v_mov_b32_e32 v3, v30
.LBB8_43:                               ;   in Loop: Header=BB8_9 Depth=1
	s_or_b64 exec, exec, s[2:3]
	v_add_u32_e32 v30, 5, v2
	v_cmp_eq_u32_e32 vcc, v30, v34
	s_waitcnt lgkmcnt(0)
	v_mov_b32_e32 v30, v29
	s_and_saveexec_b64 s[2:3], vcc
	s_cbranch_execz .LBB8_49
; %bb.44:                               ;   in Loop: Header=BB8_9 Depth=1
	v_add_u32_e32 v31, 1, v3
	v_cmp_ne_u32_e32 vcc, s7, v31
                                        ; implicit-def: $vgpr32
	s_and_saveexec_b64 s[4:5], vcc
	s_xor_b64 s[4:5], exec, s[4:5]
	s_cbranch_execz .LBB8_46
; %bb.45:                               ;   in Loop: Header=BB8_9 Depth=1
	v_lshlrev_b32_e32 v3, 2, v3
	ds_read_b32 v32, v3 offset:1032
.LBB8_46:                               ;   in Loop: Header=BB8_9 Depth=1
	s_andn2_saveexec_b64 s[4:5], s[4:5]
	s_cbranch_execz .LBB8_48
; %bb.47:                               ;   in Loop: Header=BB8_9 Depth=1
	s_waitcnt lgkmcnt(0)
	v_add_u32_e32 v32, 19, v2
.LBB8_48:                               ;   in Loop: Header=BB8_9 Depth=1
	s_or_b64 exec, exec, s[4:5]
	v_lshlrev_b32_e32 v3, 2, v31
	ds_read_b32 v30, v3
	s_waitcnt lgkmcnt(1)
	v_add_u32_e32 v34, -1, v32
	v_mov_b32_e32 v3, v31
.LBB8_49:                               ;   in Loop: Header=BB8_9 Depth=1
	s_or_b64 exec, exec, s[2:3]
	v_add_u32_e32 v31, 6, v2
	v_cmp_eq_u32_e32 vcc, v31, v34
	s_waitcnt lgkmcnt(0)
	v_mov_b32_e32 v31, v30
	s_and_saveexec_b64 s[2:3], vcc
	s_cbranch_execz .LBB8_55
; %bb.50:                               ;   in Loop: Header=BB8_9 Depth=1
	v_add_u32_e32 v32, 1, v3
	v_cmp_ne_u32_e32 vcc, s7, v32
                                        ; implicit-def: $vgpr33
	s_and_saveexec_b64 s[4:5], vcc
	s_xor_b64 s[4:5], exec, s[4:5]
	s_cbranch_execz .LBB8_52
; %bb.51:                               ;   in Loop: Header=BB8_9 Depth=1
	v_lshlrev_b32_e32 v3, 2, v3
	ds_read_b32 v33, v3 offset:1032
.LBB8_52:                               ;   in Loop: Header=BB8_9 Depth=1
	s_andn2_saveexec_b64 s[4:5], s[4:5]
	s_cbranch_execz .LBB8_54
; %bb.53:                               ;   in Loop: Header=BB8_9 Depth=1
	s_waitcnt lgkmcnt(0)
	v_add_u32_e32 v33, 20, v2
.LBB8_54:                               ;   in Loop: Header=BB8_9 Depth=1
	s_or_b64 exec, exec, s[4:5]
	v_lshlrev_b32_e32 v3, 2, v32
	ds_read_b32 v31, v3
	s_waitcnt lgkmcnt(1)
	v_add_u32_e32 v34, -1, v33
	v_mov_b32_e32 v3, v32
.LBB8_55:                               ;   in Loop: Header=BB8_9 Depth=1
	s_or_b64 exec, exec, s[2:3]
	v_add_u32_e32 v32, 7, v2
	v_cmp_eq_u32_e32 vcc, v32, v34
	s_waitcnt lgkmcnt(0)
	v_mov_b32_e32 v32, v31
	s_and_saveexec_b64 s[2:3], vcc
	s_cbranch_execz .LBB8_61
; %bb.56:                               ;   in Loop: Header=BB8_9 Depth=1
	v_add_u32_e32 v33, 1, v3
	v_cmp_ne_u32_e32 vcc, s7, v33
                                        ; implicit-def: $vgpr34
	s_and_saveexec_b64 s[4:5], vcc
	s_xor_b64 s[4:5], exec, s[4:5]
	s_cbranch_execz .LBB8_58
; %bb.57:                               ;   in Loop: Header=BB8_9 Depth=1
	v_lshlrev_b32_e32 v3, 2, v3
	ds_read_b32 v34, v3 offset:1032
.LBB8_58:                               ;   in Loop: Header=BB8_9 Depth=1
	s_andn2_saveexec_b64 s[4:5], s[4:5]
	s_cbranch_execz .LBB8_60
; %bb.59:                               ;   in Loop: Header=BB8_9 Depth=1
	s_waitcnt lgkmcnt(0)
	v_add_u32_e32 v34, 21, v2
.LBB8_60:                               ;   in Loop: Header=BB8_9 Depth=1
	s_or_b64 exec, exec, s[4:5]
	v_lshlrev_b32_e32 v3, 2, v33
	ds_read_b32 v32, v3
	s_waitcnt lgkmcnt(1)
	v_add_u32_e32 v34, -1, v34
	v_mov_b32_e32 v3, v33
.LBB8_61:                               ;   in Loop: Header=BB8_9 Depth=1
	s_or_b64 exec, exec, s[2:3]
	v_add_u32_e32 v33, 8, v2
	v_cmp_eq_u32_e32 vcc, v33, v34
	s_waitcnt lgkmcnt(0)
	v_mov_b32_e32 v33, v32
	s_and_saveexec_b64 s[2:3], vcc
	s_cbranch_execz .LBB8_67
; %bb.62:                               ;   in Loop: Header=BB8_9 Depth=1
	v_add_u32_e32 v35, 1, v3
	v_cmp_ne_u32_e32 vcc, s7, v35
                                        ; implicit-def: $vgpr34
	s_and_saveexec_b64 s[4:5], vcc
	s_xor_b64 s[4:5], exec, s[4:5]
	s_cbranch_execz .LBB8_64
; %bb.63:                               ;   in Loop: Header=BB8_9 Depth=1
	v_lshlrev_b32_e32 v3, 2, v3
	ds_read_b32 v34, v3 offset:1032
.LBB8_64:                               ;   in Loop: Header=BB8_9 Depth=1
	s_andn2_saveexec_b64 s[4:5], s[4:5]
	s_cbranch_execz .LBB8_66
; %bb.65:                               ;   in Loop: Header=BB8_9 Depth=1
	s_waitcnt lgkmcnt(0)
	v_add_u32_e32 v34, 22, v2
.LBB8_66:                               ;   in Loop: Header=BB8_9 Depth=1
	s_or_b64 exec, exec, s[4:5]
	v_lshlrev_b32_e32 v3, 2, v35
	ds_read_b32 v33, v3
	s_waitcnt lgkmcnt(1)
	v_add_u32_e32 v34, -1, v34
	v_mov_b32_e32 v3, v35
.LBB8_67:                               ;   in Loop: Header=BB8_9 Depth=1
	;; [unrolled: 31-line block ×5, first 2 shown]
	s_or_b64 exec, exec, s[2:3]
	v_add_u32_e32 v2, 12, v2
	v_cmp_eq_u32_e32 vcc, v2, v34
	s_waitcnt lgkmcnt(0)
	v_mov_b32_e32 v34, v37
	s_and_saveexec_b64 s[2:3], vcc
	s_cbranch_execz .LBB8_87
; %bb.86:                               ;   in Loop: Header=BB8_9 Depth=1
	v_lshlrev_b32_e32 v2, 2, v3
	ds_read_b32 v34, v2 offset:4
.LBB8_87:                               ;   in Loop: Header=BB8_9 Depth=1
	s_or_b64 exec, exec, s[2:3]
	s_lshl_b64 s[2:3], s[0:1], 2
	v_mov_b32_e32 v3, s3
	v_add_co_u32_e32 v2, vcc, s2, v1
	s_min_u32 s4, s8, 0xe00
	v_addc_co_u32_e32 v3, vcc, v6, v3, vcc
	v_cmp_gt_u32_e32 vcc, s4, v0
	s_and_saveexec_b64 s[2:3], vcc
	s_cbranch_execnz .LBB8_101
; %bb.88:                               ;   in Loop: Header=BB8_9 Depth=1
	s_or_b64 exec, exec, s[2:3]
	v_cmp_gt_u32_e32 vcc, s4, v7
	s_and_saveexec_b64 s[2:3], vcc
	s_cbranch_execnz .LBB8_102
.LBB8_89:                               ;   in Loop: Header=BB8_9 Depth=1
	s_or_b64 exec, exec, s[2:3]
	v_cmp_gt_u32_e32 vcc, s4, v8
	s_and_saveexec_b64 s[2:3], vcc
	s_cbranch_execnz .LBB8_103
.LBB8_90:                               ;   in Loop: Header=BB8_9 Depth=1
	s_or_b64 exec, exec, s[2:3]
	v_cmp_gt_u32_e32 vcc, s4, v9
	s_and_saveexec_b64 s[2:3], vcc
	s_cbranch_execnz .LBB8_104
.LBB8_91:                               ;   in Loop: Header=BB8_9 Depth=1
	s_or_b64 exec, exec, s[2:3]
	v_cmp_gt_u32_e32 vcc, s4, v10
	s_and_saveexec_b64 s[2:3], vcc
	s_cbranch_execnz .LBB8_105
.LBB8_92:                               ;   in Loop: Header=BB8_9 Depth=1
	s_or_b64 exec, exec, s[2:3]
	v_cmp_gt_u32_e32 vcc, s4, v11
	s_and_saveexec_b64 s[2:3], vcc
	s_cbranch_execnz .LBB8_106
.LBB8_93:                               ;   in Loop: Header=BB8_9 Depth=1
	s_or_b64 exec, exec, s[2:3]
	v_cmp_gt_u32_e32 vcc, s4, v12
	s_and_saveexec_b64 s[2:3], vcc
	s_cbranch_execnz .LBB8_107
.LBB8_94:                               ;   in Loop: Header=BB8_9 Depth=1
	s_or_b64 exec, exec, s[2:3]
	v_cmp_gt_u32_e32 vcc, s4, v13
	s_and_saveexec_b64 s[2:3], vcc
	s_cbranch_execnz .LBB8_108
.LBB8_95:                               ;   in Loop: Header=BB8_9 Depth=1
	s_or_b64 exec, exec, s[2:3]
	v_cmp_gt_u32_e32 vcc, s4, v14
	s_and_saveexec_b64 s[2:3], vcc
	s_cbranch_execnz .LBB8_109
.LBB8_96:                               ;   in Loop: Header=BB8_9 Depth=1
	s_or_b64 exec, exec, s[2:3]
	v_cmp_gt_u32_e32 vcc, s4, v15
	s_and_saveexec_b64 s[2:3], vcc
	s_cbranch_execnz .LBB8_110
.LBB8_97:                               ;   in Loop: Header=BB8_9 Depth=1
	s_or_b64 exec, exec, s[2:3]
	v_cmp_gt_u32_e32 vcc, s4, v16
	s_and_saveexec_b64 s[2:3], vcc
	s_cbranch_execnz .LBB8_111
.LBB8_98:                               ;   in Loop: Header=BB8_9 Depth=1
	s_or_b64 exec, exec, s[2:3]
	v_cmp_gt_u32_e32 vcc, s4, v17
	s_and_saveexec_b64 s[2:3], vcc
	s_cbranch_execnz .LBB8_112
.LBB8_99:                               ;   in Loop: Header=BB8_9 Depth=1
	s_or_b64 exec, exec, s[2:3]
	v_cmp_gt_u32_e32 vcc, s4, v18
	s_and_saveexec_b64 s[2:3], vcc
	s_cbranch_execnz .LBB8_113
.LBB8_100:                              ;   in Loop: Header=BB8_9 Depth=1
	s_or_b64 exec, exec, s[2:3]
	v_cmp_gt_u32_e32 vcc, s4, v19
	s_and_saveexec_b64 s[2:3], vcc
	s_cbranch_execz .LBB8_8
	s_branch .LBB8_114
.LBB8_101:                              ;   in Loop: Header=BB8_9 Depth=1
	global_store_dword v[2:3], v24, off
	s_or_b64 exec, exec, s[2:3]
	v_cmp_gt_u32_e32 vcc, s4, v7
	s_and_saveexec_b64 s[2:3], vcc
	s_cbranch_execz .LBB8_89
.LBB8_102:                              ;   in Loop: Header=BB8_9 Depth=1
	global_store_dword v[2:3], v25, off offset:4
	s_or_b64 exec, exec, s[2:3]
	v_cmp_gt_u32_e32 vcc, s4, v8
	s_and_saveexec_b64 s[2:3], vcc
	s_cbranch_execz .LBB8_90
.LBB8_103:                              ;   in Loop: Header=BB8_9 Depth=1
	global_store_dword v[2:3], v26, off offset:8
	s_or_b64 exec, exec, s[2:3]
	v_cmp_gt_u32_e32 vcc, s4, v9
	s_and_saveexec_b64 s[2:3], vcc
	s_cbranch_execz .LBB8_91
.LBB8_104:                              ;   in Loop: Header=BB8_9 Depth=1
	global_store_dword v[2:3], v27, off offset:12
	s_or_b64 exec, exec, s[2:3]
	v_cmp_gt_u32_e32 vcc, s4, v10
	s_and_saveexec_b64 s[2:3], vcc
	s_cbranch_execz .LBB8_92
.LBB8_105:                              ;   in Loop: Header=BB8_9 Depth=1
	global_store_dword v[2:3], v28, off offset:16
	s_or_b64 exec, exec, s[2:3]
	v_cmp_gt_u32_e32 vcc, s4, v11
	s_and_saveexec_b64 s[2:3], vcc
	s_cbranch_execz .LBB8_93
.LBB8_106:                              ;   in Loop: Header=BB8_9 Depth=1
	global_store_dword v[2:3], v29, off offset:20
	s_or_b64 exec, exec, s[2:3]
	v_cmp_gt_u32_e32 vcc, s4, v12
	s_and_saveexec_b64 s[2:3], vcc
	s_cbranch_execz .LBB8_94
.LBB8_107:                              ;   in Loop: Header=BB8_9 Depth=1
	global_store_dword v[2:3], v30, off offset:24
	s_or_b64 exec, exec, s[2:3]
	v_cmp_gt_u32_e32 vcc, s4, v13
	s_and_saveexec_b64 s[2:3], vcc
	s_cbranch_execz .LBB8_95
.LBB8_108:                              ;   in Loop: Header=BB8_9 Depth=1
	global_store_dword v[2:3], v31, off offset:28
	s_or_b64 exec, exec, s[2:3]
	v_cmp_gt_u32_e32 vcc, s4, v14
	s_and_saveexec_b64 s[2:3], vcc
	s_cbranch_execz .LBB8_96
.LBB8_109:                              ;   in Loop: Header=BB8_9 Depth=1
	global_store_dword v[2:3], v32, off offset:32
	s_or_b64 exec, exec, s[2:3]
	v_cmp_gt_u32_e32 vcc, s4, v15
	s_and_saveexec_b64 s[2:3], vcc
	s_cbranch_execz .LBB8_97
.LBB8_110:                              ;   in Loop: Header=BB8_9 Depth=1
	global_store_dword v[2:3], v33, off offset:36
	s_or_b64 exec, exec, s[2:3]
	v_cmp_gt_u32_e32 vcc, s4, v16
	s_and_saveexec_b64 s[2:3], vcc
	s_cbranch_execz .LBB8_98
.LBB8_111:                              ;   in Loop: Header=BB8_9 Depth=1
	global_store_dword v[2:3], v35, off offset:40
	s_or_b64 exec, exec, s[2:3]
	v_cmp_gt_u32_e32 vcc, s4, v17
	s_and_saveexec_b64 s[2:3], vcc
	s_cbranch_execz .LBB8_99
.LBB8_112:                              ;   in Loop: Header=BB8_9 Depth=1
	global_store_dword v[2:3], v36, off offset:44
	s_or_b64 exec, exec, s[2:3]
	v_cmp_gt_u32_e32 vcc, s4, v18
	s_and_saveexec_b64 s[2:3], vcc
	s_cbranch_execz .LBB8_100
.LBB8_113:                              ;   in Loop: Header=BB8_9 Depth=1
	global_store_dword v[2:3], v37, off offset:48
	s_or_b64 exec, exec, s[2:3]
	v_cmp_gt_u32_e32 vcc, s4, v19
	s_and_saveexec_b64 s[2:3], vcc
	s_cbranch_execz .LBB8_8
.LBB8_114:                              ;   in Loop: Header=BB8_9 Depth=1
	s_waitcnt lgkmcnt(0)
	global_store_dword v[2:3], v34, off offset:52
	s_branch .LBB8_8
.LBB8_115:
	s_endpgm
	.section	.rodata,"a",@progbits
	.p2align	6, 0x0
	.amdhsa_kernel _Z30block_run_length_decode_kernelIfiLj256ELj1ELj14EEvPKT_PKT0_PS0_
		.amdhsa_group_segment_fixed_size 2048
		.amdhsa_private_segment_fixed_size 0
		.amdhsa_kernarg_size 24
		.amdhsa_user_sgpr_count 6
		.amdhsa_user_sgpr_private_segment_buffer 1
		.amdhsa_user_sgpr_dispatch_ptr 0
		.amdhsa_user_sgpr_queue_ptr 0
		.amdhsa_user_sgpr_kernarg_segment_ptr 1
		.amdhsa_user_sgpr_dispatch_id 0
		.amdhsa_user_sgpr_flat_scratch_init 0
		.amdhsa_user_sgpr_kernarg_preload_length 0
		.amdhsa_user_sgpr_kernarg_preload_offset 0
		.amdhsa_user_sgpr_private_segment_size 0
		.amdhsa_uses_dynamic_stack 0
		.amdhsa_system_sgpr_private_segment_wavefront_offset 0
		.amdhsa_system_sgpr_workgroup_id_x 1
		.amdhsa_system_sgpr_workgroup_id_y 0
		.amdhsa_system_sgpr_workgroup_id_z 0
		.amdhsa_system_sgpr_workgroup_info 0
		.amdhsa_system_vgpr_workitem_id 0
		.amdhsa_next_free_vgpr 39
		.amdhsa_next_free_sgpr 9
		.amdhsa_accum_offset 40
		.amdhsa_reserve_vcc 1
		.amdhsa_reserve_flat_scratch 0
		.amdhsa_float_round_mode_32 0
		.amdhsa_float_round_mode_16_64 0
		.amdhsa_float_denorm_mode_32 3
		.amdhsa_float_denorm_mode_16_64 3
		.amdhsa_dx10_clamp 1
		.amdhsa_ieee_mode 1
		.amdhsa_fp16_overflow 0
		.amdhsa_tg_split 0
		.amdhsa_exception_fp_ieee_invalid_op 0
		.amdhsa_exception_fp_denorm_src 0
		.amdhsa_exception_fp_ieee_div_zero 0
		.amdhsa_exception_fp_ieee_overflow 0
		.amdhsa_exception_fp_ieee_underflow 0
		.amdhsa_exception_fp_ieee_inexact 0
		.amdhsa_exception_int_div_zero 0
	.end_amdhsa_kernel
	.section	.text._Z30block_run_length_decode_kernelIfiLj256ELj1ELj14EEvPKT_PKT0_PS0_,"axG",@progbits,_Z30block_run_length_decode_kernelIfiLj256ELj1ELj14EEvPKT_PKT0_PS0_,comdat
.Lfunc_end8:
	.size	_Z30block_run_length_decode_kernelIfiLj256ELj1ELj14EEvPKT_PKT0_PS0_, .Lfunc_end8-_Z30block_run_length_decode_kernelIfiLj256ELj1ELj14EEvPKT_PKT0_PS0_
                                        ; -- End function
	.section	.AMDGPU.csdata,"",@progbits
; Kernel info:
; codeLenInByte = 3128
; NumSgprs: 13
; NumVgprs: 39
; NumAgprs: 0
; TotalNumVgprs: 39
; ScratchSize: 0
; MemoryBound: 0
; FloatMode: 240
; IeeeMode: 1
; LDSByteSize: 2048 bytes/workgroup (compile time only)
; SGPRBlocks: 1
; VGPRBlocks: 4
; NumSGPRsForWavesPerEU: 13
; NumVGPRsForWavesPerEU: 39
; AccumOffset: 40
; Occupancy: 8
; WaveLimiterHint : 0
; COMPUTE_PGM_RSRC2:SCRATCH_EN: 0
; COMPUTE_PGM_RSRC2:USER_SGPR: 6
; COMPUTE_PGM_RSRC2:TRAP_HANDLER: 0
; COMPUTE_PGM_RSRC2:TGID_X_EN: 1
; COMPUTE_PGM_RSRC2:TGID_Y_EN: 0
; COMPUTE_PGM_RSRC2:TGID_Z_EN: 0
; COMPUTE_PGM_RSRC2:TIDIG_COMP_CNT: 0
; COMPUTE_PGM_RSRC3_GFX90A:ACCUM_OFFSET: 9
; COMPUTE_PGM_RSRC3_GFX90A:TG_SPLIT: 0
	.section	.text._Z30block_run_length_decode_kernelIcxLj256ELj1ELj14EEvPKT_PKT0_PS0_,"axG",@progbits,_Z30block_run_length_decode_kernelIcxLj256ELj1ELj14EEvPKT_PKT0_PS0_,comdat
	.protected	_Z30block_run_length_decode_kernelIcxLj256ELj1ELj14EEvPKT_PKT0_PS0_ ; -- Begin function _Z30block_run_length_decode_kernelIcxLj256ELj1ELj14EEvPKT_PKT0_PS0_
	.globl	_Z30block_run_length_decode_kernelIcxLj256ELj1ELj14EEvPKT_PKT0_PS0_
	.p2align	8
	.type	_Z30block_run_length_decode_kernelIcxLj256ELj1ELj14EEvPKT_PKT0_PS0_,@function
_Z30block_run_length_decode_kernelIcxLj256ELj1ELj14EEvPKT_PKT0_PS0_: ; @_Z30block_run_length_decode_kernelIcxLj256ELj1ELj14EEvPKT_PKT0_PS0_
; %bb.0:
	s_load_dwordx4 s[0:3], s[4:5], 0x0
	v_lshl_or_b32 v2, s6, 8, v0
	v_mov_b32_e32 v3, 0
	v_lshlrev_b64 v[4:5], 3, v[2:3]
	v_mbcnt_lo_u32_b32 v3, -1, 0
	s_waitcnt lgkmcnt(0)
	v_mov_b32_e32 v1, s3
	v_add_co_u32_e32 v4, vcc, s2, v4
	v_addc_co_u32_e32 v5, vcc, v1, v5, vcc
	global_load_dword v6, v[4:5], off
	global_load_ubyte v1, v2, s[0:1]
	v_mbcnt_hi_u32_b32 v3, -1, v3
	v_and_b32_e32 v7, 15, v3
	v_cmp_ne_u32_e32 vcc, 0, v7
	v_bfe_i32 v8, v3, 4, 1
	v_or_b32_e32 v5, 63, v0
	v_lshrrev_b32_e32 v4, 6, v0
	s_waitcnt vmcnt(1)
	v_mov_b32_dpp v9, v6 row_shr:1 row_mask:0xf bank_mask:0xf
	v_cndmask_b32_e32 v9, 0, v9, vcc
	v_add_u32_e32 v6, v9, v6
	v_cmp_lt_u32_e32 vcc, 1, v7
	s_nop 0
	v_mov_b32_dpp v9, v6 row_shr:2 row_mask:0xf bank_mask:0xf
	v_cndmask_b32_e32 v9, 0, v9, vcc
	v_add_u32_e32 v6, v6, v9
	v_cmp_lt_u32_e32 vcc, 3, v7
	s_nop 0
	;; [unrolled: 5-line block ×4, first 2 shown]
	v_mov_b32_dpp v7, v6 row_bcast:15 row_mask:0xf bank_mask:0xf
	v_and_b32_e32 v7, v8, v7
	v_add_u32_e32 v6, v6, v7
	s_nop 1
	v_mov_b32_dpp v7, v6 row_bcast:31 row_mask:0xf bank_mask:0xf
	v_cndmask_b32_e32 v7, 0, v7, vcc
	v_add_u32_e32 v6, v6, v7
	v_cmp_eq_u32_e32 vcc, v5, v0
	s_and_saveexec_b64 s[0:1], vcc
	s_cbranch_execz .LBB9_2
; %bb.1:
	v_lshlrev_b32_e32 v5, 2, v4
	ds_write_b32 v5, v6
.LBB9_2:
	s_or_b64 exec, exec, s[0:1]
	v_cmp_gt_u32_e32 vcc, 4, v0
	v_lshlrev_b32_e32 v5, 2, v0
	s_waitcnt lgkmcnt(0)
	s_barrier
	s_and_saveexec_b64 s[0:1], vcc
	s_cbranch_execz .LBB9_4
; %bb.3:
	ds_read_b32 v7, v5
	v_and_b32_e32 v8, 3, v3
	v_cmp_ne_u32_e32 vcc, 0, v8
	s_waitcnt lgkmcnt(0)
	v_mov_b32_dpp v9, v7 row_shr:1 row_mask:0xf bank_mask:0xf
	v_cndmask_b32_e32 v9, 0, v9, vcc
	v_add_u32_e32 v7, v9, v7
	v_cmp_lt_u32_e32 vcc, 1, v8
	s_nop 0
	v_mov_b32_dpp v9, v7 row_shr:2 row_mask:0xf bank_mask:0xf
	v_cndmask_b32_e32 v8, 0, v9, vcc
	v_add_u32_e32 v7, v7, v8
	ds_write_b32 v5, v7
.LBB9_4:
	s_or_b64 exec, exec, s[0:1]
	v_cmp_lt_u32_e32 vcc, 63, v0
	v_mov_b32_e32 v7, 0
	v_mov_b32_e32 v8, 0
	s_waitcnt lgkmcnt(0)
	s_barrier
	s_and_saveexec_b64 s[0:1], vcc
	s_cbranch_execz .LBB9_6
; %bb.5:
	v_lshl_add_u32 v4, v4, 2, -4
	ds_read_b32 v8, v4
.LBB9_6:
	s_or_b64 exec, exec, s[0:1]
	s_waitcnt lgkmcnt(0)
	v_add_u32_e32 v4, v8, v6
	v_add_u32_e32 v6, -1, v3
	v_and_b32_e32 v9, 64, v3
	v_cmp_lt_i32_e32 vcc, v6, v9
	v_cndmask_b32_e32 v6, v6, v3, vcc
	v_lshlrev_b32_e32 v6, 2, v6
	ds_bpermute_b32 v4, v6, v4
	ds_read_b32 v6, v7 offset:12
	v_cmp_eq_u32_e32 vcc, 0, v3
	s_mov_b32 s6, 0
	s_waitcnt lgkmcnt(0)
	v_cndmask_b32_e32 v3, v4, v8, vcc
	v_cmp_eq_u32_e32 vcc, 0, v6
	v_readfirstlane_b32 s7, v6
	s_and_b64 vcc, exec, vcc
	s_barrier
	s_waitcnt vmcnt(0)
	ds_write_b8 v0, v1
	ds_write_b32 v5, v3 offset:256
	s_waitcnt lgkmcnt(0)
	s_barrier
	s_cbranch_vccnz .LBB9_115
; %bb.7:
	s_load_dwordx2 s[0:1], s[4:5], 0x10
	v_mul_u32_u24_e32 v3, 14, v0
	v_mov_b32_e32 v0, 0
	ds_read_b32 v4, v0 offset:768
	v_mul_lo_u32 v2, v2, 14
	s_waitcnt lgkmcnt(0)
	v_mov_b32_e32 v0, s1
	v_add_co_u32_e32 v5, vcc, s0, v2
	v_addc_co_u32_e32 v6, vcc, 0, v0, vcc
	v_or_b32_e32 v7, 1, v2
	v_add_u32_e32 v8, 2, v2
	v_add_u32_e32 v9, 3, v2
	v_add_u32_e32 v10, 4, v2
	v_add_u32_e32 v11, 5, v2
	v_add_u32_e32 v12, 6, v2
	v_add_u32_e32 v13, 7, v2
	v_add_u32_e32 v14, 8, v2
	v_add_u32_e32 v15, 9, v2
	v_add_u32_e32 v16, 10, v2
	v_add_u32_e32 v17, 11, v2
	v_add_u32_e32 v18, 12, v2
	v_add_u32_e32 v19, 13, v2
	v_mov_b32_e32 v20, 0x81
	v_mov_b32_e32 v21, 0x100
	;; [unrolled: 1-line block ×4, first 2 shown]
	s_movk_i32 s4, 0xff
	s_mov_b32 s5, s7
	s_branch .LBB9_9
.LBB9_8:                                ;   in Loop: Header=BB9_9 Depth=1
	s_or_b64 exec, exec, s[0:1]
	s_addk_i32 s6, 0xe00
	s_addk_i32 s5, 0xf200
	s_cmp_lt_u32 s6, s7
	s_cbranch_scc0 .LBB9_115
.LBB9_9:                                ; =>This Inner Loop Header: Depth=1
	v_add_u32_e32 v0, s6, v3
	v_cmp_gt_u32_e32 vcc, v4, v0
	v_cndmask_b32_e64 v24, v23, 64, vcc
	v_lshlrev_b32_e32 v25, 2, v24
	ds_read_b32 v25, v25 offset:256
	v_cndmask_b32_e64 v1, v20, 0, vcc
	v_cndmask_b32_e32 v26, v21, v22, vcc
	v_or_b32_e32 v27, 1, v24
	s_waitcnt lgkmcnt(0)
	v_cmp_gt_u32_e32 vcc, v25, v0
	v_cndmask_b32_e32 v1, v27, v1, vcc
	v_cndmask_b32_e32 v24, v26, v24, vcc
	v_sub_u32_e32 v25, v24, v1
	v_lshrrev_b16_e32 v26, 15, v25
	v_add_u16_e32 v25, v25, v26
	v_ashrrev_i16_e32 v25, 1, v25
	v_add_u32_sdwa v25, v1, sext(v25) dst_sel:DWORD dst_unused:UNUSED_PAD src0_sel:DWORD src1_sel:WORD_0
	v_min_i32_e32 v25, 0xff, v25
	v_lshlrev_b32_e32 v26, 2, v25
	ds_read_b32 v26, v26 offset:256
	v_add_u32_e32 v27, 1, v25
	s_waitcnt lgkmcnt(0)
	v_cmp_gt_u32_e32 vcc, v26, v0
	v_cndmask_b32_e32 v1, v27, v1, vcc
	v_cndmask_b32_e32 v24, v24, v25, vcc
	v_sub_u32_e32 v25, v24, v1
	v_lshrrev_b16_e32 v26, 15, v25
	v_add_u16_e32 v25, v25, v26
	v_ashrrev_i16_e32 v25, 1, v25
	v_add_u32_sdwa v25, v1, sext(v25) dst_sel:DWORD dst_unused:UNUSED_PAD src0_sel:DWORD src1_sel:WORD_0
	v_min_i32_e32 v25, 0xff, v25
	v_lshlrev_b32_e32 v26, 2, v25
	ds_read_b32 v26, v26 offset:256
	v_add_u32_e32 v27, 1, v25
	;; [unrolled: 13-line block ×7, first 2 shown]
	s_waitcnt lgkmcnt(0)
	v_cmp_gt_u32_e32 vcc, v25, v0
	v_cndmask_b32_e32 v26, v24, v1, vcc
	v_add_u32_e32 v1, -1, v26
	v_cmp_ne_u32_e32 vcc, s4, v1
                                        ; implicit-def: $vgpr25
	s_and_saveexec_b64 s[0:1], vcc
	s_xor_b64 s[0:1], exec, s[0:1]
	s_cbranch_execz .LBB9_11
; %bb.10:                               ;   in Loop: Header=BB9_9 Depth=1
	v_lshlrev_b32_e32 v24, 2, v26
	ds_read_b32 v25, v24 offset:256
.LBB9_11:                               ;   in Loop: Header=BB9_9 Depth=1
	s_andn2_saveexec_b64 s[0:1], s[0:1]
	s_cbranch_execz .LBB9_13
; %bb.12:                               ;   in Loop: Header=BB9_9 Depth=1
	s_waitcnt lgkmcnt(0)
	v_add_u32_e32 v25, 14, v0
.LBB9_13:                               ;   in Loop: Header=BB9_9 Depth=1
	s_or_b64 exec, exec, s[0:1]
	ds_read_u8 v24, v1
	s_waitcnt lgkmcnt(1)
	v_add_u32_e32 v34, -1, v25
	v_cmp_eq_u32_e32 vcc, v0, v34
	s_waitcnt lgkmcnt(0)
	v_mov_b32_e32 v25, v24
	s_and_saveexec_b64 s[0:1], vcc
	s_cbranch_execz .LBB9_19
; %bb.14:                               ;   in Loop: Header=BB9_9 Depth=1
	v_cmp_ne_u32_e32 vcc, s4, v26
                                        ; implicit-def: $vgpr1
	s_and_saveexec_b64 s[2:3], vcc
	s_xor_b64 s[2:3], exec, s[2:3]
	s_cbranch_execz .LBB9_16
; %bb.15:                               ;   in Loop: Header=BB9_9 Depth=1
	v_lshlrev_b32_e32 v1, 2, v26
	ds_read_b32 v1, v1 offset:260
.LBB9_16:                               ;   in Loop: Header=BB9_9 Depth=1
	s_andn2_saveexec_b64 s[2:3], s[2:3]
	s_cbranch_execz .LBB9_18
; %bb.17:                               ;   in Loop: Header=BB9_9 Depth=1
	s_waitcnt lgkmcnt(0)
	v_add_u32_e32 v1, 14, v0
.LBB9_18:                               ;   in Loop: Header=BB9_9 Depth=1
	s_or_b64 exec, exec, s[2:3]
	ds_read_u8 v25, v26
	s_waitcnt lgkmcnt(1)
	v_add_u32_e32 v34, -1, v1
	v_mov_b32_e32 v1, v26
.LBB9_19:                               ;   in Loop: Header=BB9_9 Depth=1
	s_or_b64 exec, exec, s[0:1]
	v_add_u32_e32 v26, 1, v0
	v_cmp_eq_u32_e32 vcc, v26, v34
	s_waitcnt lgkmcnt(0)
	v_mov_b32_e32 v26, v25
	s_and_saveexec_b64 s[0:1], vcc
	s_cbranch_execz .LBB9_25
; %bb.20:                               ;   in Loop: Header=BB9_9 Depth=1
	v_add_u32_e32 v27, 1, v1
	v_cmp_ne_u32_e32 vcc, s4, v27
                                        ; implicit-def: $vgpr28
	s_and_saveexec_b64 s[2:3], vcc
	s_xor_b64 s[2:3], exec, s[2:3]
	s_cbranch_execz .LBB9_22
; %bb.21:                               ;   in Loop: Header=BB9_9 Depth=1
	v_lshlrev_b32_e32 v1, 2, v1
	ds_read_b32 v28, v1 offset:264
.LBB9_22:                               ;   in Loop: Header=BB9_9 Depth=1
	s_andn2_saveexec_b64 s[2:3], s[2:3]
	s_cbranch_execz .LBB9_24
; %bb.23:                               ;   in Loop: Header=BB9_9 Depth=1
	s_waitcnt lgkmcnt(0)
	v_add_u32_e32 v28, 15, v0
.LBB9_24:                               ;   in Loop: Header=BB9_9 Depth=1
	s_or_b64 exec, exec, s[2:3]
	ds_read_u8 v26, v27
	s_waitcnt lgkmcnt(1)
	v_add_u32_e32 v34, -1, v28
	v_mov_b32_e32 v1, v27
.LBB9_25:                               ;   in Loop: Header=BB9_9 Depth=1
	s_or_b64 exec, exec, s[0:1]
	v_add_u32_e32 v27, 2, v0
	v_cmp_eq_u32_e32 vcc, v27, v34
	s_waitcnt lgkmcnt(0)
	v_mov_b32_e32 v27, v26
	s_and_saveexec_b64 s[0:1], vcc
	s_cbranch_execz .LBB9_31
; %bb.26:                               ;   in Loop: Header=BB9_9 Depth=1
	v_add_u32_e32 v28, 1, v1
	v_cmp_ne_u32_e32 vcc, s4, v28
                                        ; implicit-def: $vgpr29
	s_and_saveexec_b64 s[2:3], vcc
	s_xor_b64 s[2:3], exec, s[2:3]
	s_cbranch_execz .LBB9_28
; %bb.27:                               ;   in Loop: Header=BB9_9 Depth=1
	v_lshlrev_b32_e32 v1, 2, v1
	ds_read_b32 v29, v1 offset:264
.LBB9_28:                               ;   in Loop: Header=BB9_9 Depth=1
	s_andn2_saveexec_b64 s[2:3], s[2:3]
	s_cbranch_execz .LBB9_30
; %bb.29:                               ;   in Loop: Header=BB9_9 Depth=1
	s_waitcnt lgkmcnt(0)
	v_add_u32_e32 v29, 16, v0
.LBB9_30:                               ;   in Loop: Header=BB9_9 Depth=1
	s_or_b64 exec, exec, s[2:3]
	ds_read_u8 v27, v28
	s_waitcnt lgkmcnt(1)
	v_add_u32_e32 v34, -1, v29
	v_mov_b32_e32 v1, v28
.LBB9_31:                               ;   in Loop: Header=BB9_9 Depth=1
	s_or_b64 exec, exec, s[0:1]
	v_add_u32_e32 v28, 3, v0
	v_cmp_eq_u32_e32 vcc, v28, v34
	s_waitcnt lgkmcnt(0)
	v_mov_b32_e32 v28, v27
	s_and_saveexec_b64 s[0:1], vcc
	s_cbranch_execz .LBB9_37
; %bb.32:                               ;   in Loop: Header=BB9_9 Depth=1
	v_add_u32_e32 v29, 1, v1
	v_cmp_ne_u32_e32 vcc, s4, v29
                                        ; implicit-def: $vgpr30
	s_and_saveexec_b64 s[2:3], vcc
	s_xor_b64 s[2:3], exec, s[2:3]
	s_cbranch_execz .LBB9_34
; %bb.33:                               ;   in Loop: Header=BB9_9 Depth=1
	v_lshlrev_b32_e32 v1, 2, v1
	ds_read_b32 v30, v1 offset:264
.LBB9_34:                               ;   in Loop: Header=BB9_9 Depth=1
	s_andn2_saveexec_b64 s[2:3], s[2:3]
	s_cbranch_execz .LBB9_36
; %bb.35:                               ;   in Loop: Header=BB9_9 Depth=1
	s_waitcnt lgkmcnt(0)
	v_add_u32_e32 v30, 17, v0
.LBB9_36:                               ;   in Loop: Header=BB9_9 Depth=1
	s_or_b64 exec, exec, s[2:3]
	ds_read_u8 v28, v29
	s_waitcnt lgkmcnt(1)
	v_add_u32_e32 v34, -1, v30
	v_mov_b32_e32 v1, v29
.LBB9_37:                               ;   in Loop: Header=BB9_9 Depth=1
	s_or_b64 exec, exec, s[0:1]
	v_add_u32_e32 v29, 4, v0
	v_cmp_eq_u32_e32 vcc, v29, v34
	s_waitcnt lgkmcnt(0)
	v_mov_b32_e32 v29, v28
	s_and_saveexec_b64 s[0:1], vcc
	s_cbranch_execz .LBB9_43
; %bb.38:                               ;   in Loop: Header=BB9_9 Depth=1
	v_add_u32_e32 v30, 1, v1
	v_cmp_ne_u32_e32 vcc, s4, v30
                                        ; implicit-def: $vgpr31
	s_and_saveexec_b64 s[2:3], vcc
	s_xor_b64 s[2:3], exec, s[2:3]
	s_cbranch_execz .LBB9_40
; %bb.39:                               ;   in Loop: Header=BB9_9 Depth=1
	v_lshlrev_b32_e32 v1, 2, v1
	ds_read_b32 v31, v1 offset:264
.LBB9_40:                               ;   in Loop: Header=BB9_9 Depth=1
	s_andn2_saveexec_b64 s[2:3], s[2:3]
	s_cbranch_execz .LBB9_42
; %bb.41:                               ;   in Loop: Header=BB9_9 Depth=1
	s_waitcnt lgkmcnt(0)
	v_add_u32_e32 v31, 18, v0
.LBB9_42:                               ;   in Loop: Header=BB9_9 Depth=1
	s_or_b64 exec, exec, s[2:3]
	ds_read_u8 v29, v30
	s_waitcnt lgkmcnt(1)
	v_add_u32_e32 v34, -1, v31
	v_mov_b32_e32 v1, v30
.LBB9_43:                               ;   in Loop: Header=BB9_9 Depth=1
	s_or_b64 exec, exec, s[0:1]
	v_add_u32_e32 v30, 5, v0
	v_cmp_eq_u32_e32 vcc, v30, v34
	s_waitcnt lgkmcnt(0)
	v_mov_b32_e32 v30, v29
	s_and_saveexec_b64 s[0:1], vcc
	s_cbranch_execz .LBB9_49
; %bb.44:                               ;   in Loop: Header=BB9_9 Depth=1
	v_add_u32_e32 v31, 1, v1
	v_cmp_ne_u32_e32 vcc, s4, v31
                                        ; implicit-def: $vgpr32
	s_and_saveexec_b64 s[2:3], vcc
	s_xor_b64 s[2:3], exec, s[2:3]
	s_cbranch_execz .LBB9_46
; %bb.45:                               ;   in Loop: Header=BB9_9 Depth=1
	v_lshlrev_b32_e32 v1, 2, v1
	ds_read_b32 v32, v1 offset:264
.LBB9_46:                               ;   in Loop: Header=BB9_9 Depth=1
	s_andn2_saveexec_b64 s[2:3], s[2:3]
	s_cbranch_execz .LBB9_48
; %bb.47:                               ;   in Loop: Header=BB9_9 Depth=1
	s_waitcnt lgkmcnt(0)
	v_add_u32_e32 v32, 19, v0
.LBB9_48:                               ;   in Loop: Header=BB9_9 Depth=1
	s_or_b64 exec, exec, s[2:3]
	ds_read_u8 v30, v31
	s_waitcnt lgkmcnt(1)
	v_add_u32_e32 v34, -1, v32
	v_mov_b32_e32 v1, v31
.LBB9_49:                               ;   in Loop: Header=BB9_9 Depth=1
	s_or_b64 exec, exec, s[0:1]
	v_add_u32_e32 v31, 6, v0
	v_cmp_eq_u32_e32 vcc, v31, v34
	s_waitcnt lgkmcnt(0)
	v_mov_b32_e32 v31, v30
	s_and_saveexec_b64 s[0:1], vcc
	s_cbranch_execz .LBB9_55
; %bb.50:                               ;   in Loop: Header=BB9_9 Depth=1
	v_add_u32_e32 v32, 1, v1
	v_cmp_ne_u32_e32 vcc, s4, v32
                                        ; implicit-def: $vgpr33
	s_and_saveexec_b64 s[2:3], vcc
	s_xor_b64 s[2:3], exec, s[2:3]
	s_cbranch_execz .LBB9_52
; %bb.51:                               ;   in Loop: Header=BB9_9 Depth=1
	v_lshlrev_b32_e32 v1, 2, v1
	ds_read_b32 v33, v1 offset:264
.LBB9_52:                               ;   in Loop: Header=BB9_9 Depth=1
	s_andn2_saveexec_b64 s[2:3], s[2:3]
	s_cbranch_execz .LBB9_54
; %bb.53:                               ;   in Loop: Header=BB9_9 Depth=1
	s_waitcnt lgkmcnt(0)
	v_add_u32_e32 v33, 20, v0
.LBB9_54:                               ;   in Loop: Header=BB9_9 Depth=1
	s_or_b64 exec, exec, s[2:3]
	ds_read_u8 v31, v32
	s_waitcnt lgkmcnt(1)
	v_add_u32_e32 v34, -1, v33
	v_mov_b32_e32 v1, v32
.LBB9_55:                               ;   in Loop: Header=BB9_9 Depth=1
	s_or_b64 exec, exec, s[0:1]
	v_add_u32_e32 v32, 7, v0
	v_cmp_eq_u32_e32 vcc, v32, v34
	s_waitcnt lgkmcnt(0)
	v_mov_b32_e32 v32, v31
	s_and_saveexec_b64 s[0:1], vcc
	s_cbranch_execz .LBB9_61
; %bb.56:                               ;   in Loop: Header=BB9_9 Depth=1
	v_add_u32_e32 v33, 1, v1
	v_cmp_ne_u32_e32 vcc, s4, v33
                                        ; implicit-def: $vgpr34
	s_and_saveexec_b64 s[2:3], vcc
	s_xor_b64 s[2:3], exec, s[2:3]
	s_cbranch_execz .LBB9_58
; %bb.57:                               ;   in Loop: Header=BB9_9 Depth=1
	v_lshlrev_b32_e32 v1, 2, v1
	ds_read_b32 v34, v1 offset:264
.LBB9_58:                               ;   in Loop: Header=BB9_9 Depth=1
	s_andn2_saveexec_b64 s[2:3], s[2:3]
	s_cbranch_execz .LBB9_60
; %bb.59:                               ;   in Loop: Header=BB9_9 Depth=1
	s_waitcnt lgkmcnt(0)
	v_add_u32_e32 v34, 21, v0
.LBB9_60:                               ;   in Loop: Header=BB9_9 Depth=1
	s_or_b64 exec, exec, s[2:3]
	ds_read_u8 v32, v33
	s_waitcnt lgkmcnt(1)
	v_add_u32_e32 v34, -1, v34
	v_mov_b32_e32 v1, v33
.LBB9_61:                               ;   in Loop: Header=BB9_9 Depth=1
	s_or_b64 exec, exec, s[0:1]
	v_add_u32_e32 v33, 8, v0
	v_cmp_eq_u32_e32 vcc, v33, v34
	s_waitcnt lgkmcnt(0)
	v_mov_b32_e32 v33, v32
	s_and_saveexec_b64 s[0:1], vcc
	s_cbranch_execz .LBB9_67
; %bb.62:                               ;   in Loop: Header=BB9_9 Depth=1
	v_add_u32_e32 v35, 1, v1
	v_cmp_ne_u32_e32 vcc, s4, v35
                                        ; implicit-def: $vgpr34
	s_and_saveexec_b64 s[2:3], vcc
	s_xor_b64 s[2:3], exec, s[2:3]
	s_cbranch_execz .LBB9_64
; %bb.63:                               ;   in Loop: Header=BB9_9 Depth=1
	v_lshlrev_b32_e32 v1, 2, v1
	ds_read_b32 v34, v1 offset:264
.LBB9_64:                               ;   in Loop: Header=BB9_9 Depth=1
	s_andn2_saveexec_b64 s[2:3], s[2:3]
	s_cbranch_execz .LBB9_66
; %bb.65:                               ;   in Loop: Header=BB9_9 Depth=1
	s_waitcnt lgkmcnt(0)
	v_add_u32_e32 v34, 22, v0
.LBB9_66:                               ;   in Loop: Header=BB9_9 Depth=1
	s_or_b64 exec, exec, s[2:3]
	ds_read_u8 v33, v35
	s_waitcnt lgkmcnt(1)
	v_add_u32_e32 v34, -1, v34
	v_mov_b32_e32 v1, v35
.LBB9_67:                               ;   in Loop: Header=BB9_9 Depth=1
	;; [unrolled: 30-line block ×5, first 2 shown]
	s_or_b64 exec, exec, s[0:1]
	v_add_u32_e32 v0, 12, v0
	v_cmp_eq_u32_e32 vcc, v0, v34
	s_waitcnt lgkmcnt(0)
	v_mov_b32_e32 v34, v37
	s_and_saveexec_b64 s[0:1], vcc
	s_cbranch_execz .LBB9_87
; %bb.86:                               ;   in Loop: Header=BB9_9 Depth=1
	ds_read_u8 v34, v1 offset:1
.LBB9_87:                               ;   in Loop: Header=BB9_9 Depth=1
	s_or_b64 exec, exec, s[0:1]
	v_add_co_u32_e32 v0, vcc, s6, v5
	s_min_u32 s2, s5, 0xe00
	v_addc_co_u32_e32 v1, vcc, 0, v6, vcc
	v_cmp_gt_u32_e32 vcc, s2, v2
	s_and_saveexec_b64 s[0:1], vcc
	s_cbranch_execnz .LBB9_101
; %bb.88:                               ;   in Loop: Header=BB9_9 Depth=1
	s_or_b64 exec, exec, s[0:1]
	v_cmp_gt_u32_e32 vcc, s2, v7
	s_and_saveexec_b64 s[0:1], vcc
	s_cbranch_execnz .LBB9_102
.LBB9_89:                               ;   in Loop: Header=BB9_9 Depth=1
	s_or_b64 exec, exec, s[0:1]
	v_cmp_gt_u32_e32 vcc, s2, v8
	s_and_saveexec_b64 s[0:1], vcc
	s_cbranch_execnz .LBB9_103
.LBB9_90:                               ;   in Loop: Header=BB9_9 Depth=1
	s_or_b64 exec, exec, s[0:1]
	v_cmp_gt_u32_e32 vcc, s2, v9
	s_and_saveexec_b64 s[0:1], vcc
	s_cbranch_execnz .LBB9_104
.LBB9_91:                               ;   in Loop: Header=BB9_9 Depth=1
	s_or_b64 exec, exec, s[0:1]
	v_cmp_gt_u32_e32 vcc, s2, v10
	s_and_saveexec_b64 s[0:1], vcc
	s_cbranch_execnz .LBB9_105
.LBB9_92:                               ;   in Loop: Header=BB9_9 Depth=1
	s_or_b64 exec, exec, s[0:1]
	v_cmp_gt_u32_e32 vcc, s2, v11
	s_and_saveexec_b64 s[0:1], vcc
	s_cbranch_execnz .LBB9_106
.LBB9_93:                               ;   in Loop: Header=BB9_9 Depth=1
	s_or_b64 exec, exec, s[0:1]
	v_cmp_gt_u32_e32 vcc, s2, v12
	s_and_saveexec_b64 s[0:1], vcc
	s_cbranch_execnz .LBB9_107
.LBB9_94:                               ;   in Loop: Header=BB9_9 Depth=1
	s_or_b64 exec, exec, s[0:1]
	v_cmp_gt_u32_e32 vcc, s2, v13
	s_and_saveexec_b64 s[0:1], vcc
	s_cbranch_execnz .LBB9_108
.LBB9_95:                               ;   in Loop: Header=BB9_9 Depth=1
	s_or_b64 exec, exec, s[0:1]
	v_cmp_gt_u32_e32 vcc, s2, v14
	s_and_saveexec_b64 s[0:1], vcc
	s_cbranch_execnz .LBB9_109
.LBB9_96:                               ;   in Loop: Header=BB9_9 Depth=1
	s_or_b64 exec, exec, s[0:1]
	v_cmp_gt_u32_e32 vcc, s2, v15
	s_and_saveexec_b64 s[0:1], vcc
	s_cbranch_execnz .LBB9_110
.LBB9_97:                               ;   in Loop: Header=BB9_9 Depth=1
	s_or_b64 exec, exec, s[0:1]
	v_cmp_gt_u32_e32 vcc, s2, v16
	s_and_saveexec_b64 s[0:1], vcc
	s_cbranch_execnz .LBB9_111
.LBB9_98:                               ;   in Loop: Header=BB9_9 Depth=1
	s_or_b64 exec, exec, s[0:1]
	v_cmp_gt_u32_e32 vcc, s2, v17
	s_and_saveexec_b64 s[0:1], vcc
	s_cbranch_execnz .LBB9_112
.LBB9_99:                               ;   in Loop: Header=BB9_9 Depth=1
	s_or_b64 exec, exec, s[0:1]
	v_cmp_gt_u32_e32 vcc, s2, v18
	s_and_saveexec_b64 s[0:1], vcc
	s_cbranch_execnz .LBB9_113
.LBB9_100:                              ;   in Loop: Header=BB9_9 Depth=1
	s_or_b64 exec, exec, s[0:1]
	v_cmp_gt_u32_e32 vcc, s2, v19
	s_and_saveexec_b64 s[0:1], vcc
	s_cbranch_execz .LBB9_8
	s_branch .LBB9_114
.LBB9_101:                              ;   in Loop: Header=BB9_9 Depth=1
	global_store_byte v[0:1], v24, off
	s_or_b64 exec, exec, s[0:1]
	v_cmp_gt_u32_e32 vcc, s2, v7
	s_and_saveexec_b64 s[0:1], vcc
	s_cbranch_execz .LBB9_89
.LBB9_102:                              ;   in Loop: Header=BB9_9 Depth=1
	global_store_byte v[0:1], v25, off offset:1
	s_or_b64 exec, exec, s[0:1]
	v_cmp_gt_u32_e32 vcc, s2, v8
	s_and_saveexec_b64 s[0:1], vcc
	s_cbranch_execz .LBB9_90
.LBB9_103:                              ;   in Loop: Header=BB9_9 Depth=1
	global_store_byte v[0:1], v26, off offset:2
	s_or_b64 exec, exec, s[0:1]
	v_cmp_gt_u32_e32 vcc, s2, v9
	s_and_saveexec_b64 s[0:1], vcc
	s_cbranch_execz .LBB9_91
.LBB9_104:                              ;   in Loop: Header=BB9_9 Depth=1
	global_store_byte v[0:1], v27, off offset:3
	s_or_b64 exec, exec, s[0:1]
	v_cmp_gt_u32_e32 vcc, s2, v10
	s_and_saveexec_b64 s[0:1], vcc
	s_cbranch_execz .LBB9_92
.LBB9_105:                              ;   in Loop: Header=BB9_9 Depth=1
	global_store_byte v[0:1], v28, off offset:4
	s_or_b64 exec, exec, s[0:1]
	v_cmp_gt_u32_e32 vcc, s2, v11
	s_and_saveexec_b64 s[0:1], vcc
	s_cbranch_execz .LBB9_93
.LBB9_106:                              ;   in Loop: Header=BB9_9 Depth=1
	global_store_byte v[0:1], v29, off offset:5
	s_or_b64 exec, exec, s[0:1]
	v_cmp_gt_u32_e32 vcc, s2, v12
	s_and_saveexec_b64 s[0:1], vcc
	s_cbranch_execz .LBB9_94
.LBB9_107:                              ;   in Loop: Header=BB9_9 Depth=1
	global_store_byte v[0:1], v30, off offset:6
	s_or_b64 exec, exec, s[0:1]
	v_cmp_gt_u32_e32 vcc, s2, v13
	s_and_saveexec_b64 s[0:1], vcc
	s_cbranch_execz .LBB9_95
.LBB9_108:                              ;   in Loop: Header=BB9_9 Depth=1
	global_store_byte v[0:1], v31, off offset:7
	s_or_b64 exec, exec, s[0:1]
	v_cmp_gt_u32_e32 vcc, s2, v14
	s_and_saveexec_b64 s[0:1], vcc
	s_cbranch_execz .LBB9_96
.LBB9_109:                              ;   in Loop: Header=BB9_9 Depth=1
	global_store_byte v[0:1], v32, off offset:8
	s_or_b64 exec, exec, s[0:1]
	v_cmp_gt_u32_e32 vcc, s2, v15
	s_and_saveexec_b64 s[0:1], vcc
	s_cbranch_execz .LBB9_97
.LBB9_110:                              ;   in Loop: Header=BB9_9 Depth=1
	global_store_byte v[0:1], v33, off offset:9
	s_or_b64 exec, exec, s[0:1]
	v_cmp_gt_u32_e32 vcc, s2, v16
	s_and_saveexec_b64 s[0:1], vcc
	s_cbranch_execz .LBB9_98
.LBB9_111:                              ;   in Loop: Header=BB9_9 Depth=1
	global_store_byte v[0:1], v35, off offset:10
	s_or_b64 exec, exec, s[0:1]
	v_cmp_gt_u32_e32 vcc, s2, v17
	s_and_saveexec_b64 s[0:1], vcc
	s_cbranch_execz .LBB9_99
.LBB9_112:                              ;   in Loop: Header=BB9_9 Depth=1
	global_store_byte v[0:1], v36, off offset:11
	s_or_b64 exec, exec, s[0:1]
	v_cmp_gt_u32_e32 vcc, s2, v18
	s_and_saveexec_b64 s[0:1], vcc
	s_cbranch_execz .LBB9_100
.LBB9_113:                              ;   in Loop: Header=BB9_9 Depth=1
	global_store_byte v[0:1], v37, off offset:12
	s_or_b64 exec, exec, s[0:1]
	v_cmp_gt_u32_e32 vcc, s2, v19
	s_and_saveexec_b64 s[0:1], vcc
	s_cbranch_execz .LBB9_8
.LBB9_114:                              ;   in Loop: Header=BB9_9 Depth=1
	s_waitcnt lgkmcnt(0)
	global_store_byte v[0:1], v34, off offset:13
	s_branch .LBB9_8
.LBB9_115:
	s_endpgm
	.section	.rodata,"a",@progbits
	.p2align	6, 0x0
	.amdhsa_kernel _Z30block_run_length_decode_kernelIcxLj256ELj1ELj14EEvPKT_PKT0_PS0_
		.amdhsa_group_segment_fixed_size 1280
		.amdhsa_private_segment_fixed_size 0
		.amdhsa_kernarg_size 24
		.amdhsa_user_sgpr_count 6
		.amdhsa_user_sgpr_private_segment_buffer 1
		.amdhsa_user_sgpr_dispatch_ptr 0
		.amdhsa_user_sgpr_queue_ptr 0
		.amdhsa_user_sgpr_kernarg_segment_ptr 1
		.amdhsa_user_sgpr_dispatch_id 0
		.amdhsa_user_sgpr_flat_scratch_init 0
		.amdhsa_user_sgpr_kernarg_preload_length 0
		.amdhsa_user_sgpr_kernarg_preload_offset 0
		.amdhsa_user_sgpr_private_segment_size 0
		.amdhsa_uses_dynamic_stack 0
		.amdhsa_system_sgpr_private_segment_wavefront_offset 0
		.amdhsa_system_sgpr_workgroup_id_x 1
		.amdhsa_system_sgpr_workgroup_id_y 0
		.amdhsa_system_sgpr_workgroup_id_z 0
		.amdhsa_system_sgpr_workgroup_info 0
		.amdhsa_system_vgpr_workitem_id 0
		.amdhsa_next_free_vgpr 39
		.amdhsa_next_free_sgpr 8
		.amdhsa_accum_offset 40
		.amdhsa_reserve_vcc 1
		.amdhsa_reserve_flat_scratch 0
		.amdhsa_float_round_mode_32 0
		.amdhsa_float_round_mode_16_64 0
		.amdhsa_float_denorm_mode_32 3
		.amdhsa_float_denorm_mode_16_64 3
		.amdhsa_dx10_clamp 1
		.amdhsa_ieee_mode 1
		.amdhsa_fp16_overflow 0
		.amdhsa_tg_split 0
		.amdhsa_exception_fp_ieee_invalid_op 0
		.amdhsa_exception_fp_denorm_src 0
		.amdhsa_exception_fp_ieee_div_zero 0
		.amdhsa_exception_fp_ieee_overflow 0
		.amdhsa_exception_fp_ieee_underflow 0
		.amdhsa_exception_fp_ieee_inexact 0
		.amdhsa_exception_int_div_zero 0
	.end_amdhsa_kernel
	.section	.text._Z30block_run_length_decode_kernelIcxLj256ELj1ELj14EEvPKT_PKT0_PS0_,"axG",@progbits,_Z30block_run_length_decode_kernelIcxLj256ELj1ELj14EEvPKT_PKT0_PS0_,comdat
.Lfunc_end9:
	.size	_Z30block_run_length_decode_kernelIcxLj256ELj1ELj14EEvPKT_PKT0_PS0_, .Lfunc_end9-_Z30block_run_length_decode_kernelIcxLj256ELj1ELj14EEvPKT_PKT0_PS0_
                                        ; -- End function
	.section	.AMDGPU.csdata,"",@progbits
; Kernel info:
; codeLenInByte = 3052
; NumSgprs: 12
; NumVgprs: 39
; NumAgprs: 0
; TotalNumVgprs: 39
; ScratchSize: 0
; MemoryBound: 0
; FloatMode: 240
; IeeeMode: 1
; LDSByteSize: 1280 bytes/workgroup (compile time only)
; SGPRBlocks: 1
; VGPRBlocks: 4
; NumSGPRsForWavesPerEU: 12
; NumVGPRsForWavesPerEU: 39
; AccumOffset: 40
; Occupancy: 8
; WaveLimiterHint : 0
; COMPUTE_PGM_RSRC2:SCRATCH_EN: 0
; COMPUTE_PGM_RSRC2:USER_SGPR: 6
; COMPUTE_PGM_RSRC2:TRAP_HANDLER: 0
; COMPUTE_PGM_RSRC2:TGID_X_EN: 1
; COMPUTE_PGM_RSRC2:TGID_Y_EN: 0
; COMPUTE_PGM_RSRC2:TGID_Z_EN: 0
; COMPUTE_PGM_RSRC2:TIDIG_COMP_CNT: 0
; COMPUTE_PGM_RSRC3_GFX90A:ACCUM_OFFSET: 9
; COMPUTE_PGM_RSRC3_GFX90A:TG_SPLIT: 0
	.section	.text._Z30block_run_length_decode_kernelIdcLj256ELj1ELj14EEvPKT_PKT0_PS0_,"axG",@progbits,_Z30block_run_length_decode_kernelIdcLj256ELj1ELj14EEvPKT_PKT0_PS0_,comdat
	.protected	_Z30block_run_length_decode_kernelIdcLj256ELj1ELj14EEvPKT_PKT0_PS0_ ; -- Begin function _Z30block_run_length_decode_kernelIdcLj256ELj1ELj14EEvPKT_PKT0_PS0_
	.globl	_Z30block_run_length_decode_kernelIdcLj256ELj1ELj14EEvPKT_PKT0_PS0_
	.p2align	8
	.type	_Z30block_run_length_decode_kernelIdcLj256ELj1ELj14EEvPKT_PKT0_PS0_,@function
_Z30block_run_length_decode_kernelIdcLj256ELj1ELj14EEvPKT_PKT0_PS0_: ; @_Z30block_run_length_decode_kernelIdcLj256ELj1ELj14EEvPKT_PKT0_PS0_
; %bb.0:
	s_load_dwordx4 s[0:3], s[4:5], 0x0
	v_lshl_or_b32 v2, s6, 8, v0
	v_mov_b32_e32 v3, 0
	v_lshlrev_b64 v[4:5], 3, v[2:3]
	v_or_b32_e32 v8, 63, v0
	s_waitcnt lgkmcnt(0)
	global_load_sbyte v6, v2, s[2:3]
	v_mov_b32_e32 v1, s1
	v_add_co_u32_e32 v4, vcc, s0, v4
	v_addc_co_u32_e32 v5, vcc, v1, v5, vcc
	global_load_dwordx2 v[4:5], v[4:5], off
	v_mbcnt_lo_u32_b32 v1, -1, 0
	v_mbcnt_hi_u32_b32 v1, -1, v1
	v_and_b32_e32 v7, 15, v1
	v_cmp_ne_u32_e32 vcc, 0, v7
	v_bfe_i32 v9, v1, 4, 1
	v_lshrrev_b32_e32 v3, 6, v0
	s_waitcnt vmcnt(1)
	v_mov_b32_dpp v10, v6 row_shr:1 row_mask:0xf bank_mask:0xf
	v_cndmask_b32_e32 v10, 0, v10, vcc
	v_add_u32_e32 v6, v10, v6
	v_cmp_lt_u32_e32 vcc, 1, v7
	s_nop 0
	v_mov_b32_dpp v10, v6 row_shr:2 row_mask:0xf bank_mask:0xf
	v_cndmask_b32_e32 v10, 0, v10, vcc
	v_add_u32_e32 v6, v6, v10
	v_cmp_lt_u32_e32 vcc, 3, v7
	s_nop 0
	;; [unrolled: 5-line block ×4, first 2 shown]
	v_mov_b32_dpp v7, v6 row_bcast:15 row_mask:0xf bank_mask:0xf
	v_and_b32_e32 v7, v9, v7
	v_add_u32_e32 v6, v6, v7
	s_nop 1
	v_mov_b32_dpp v7, v6 row_bcast:31 row_mask:0xf bank_mask:0xf
	v_cndmask_b32_e32 v7, 0, v7, vcc
	v_add_u32_e32 v7, v6, v7
	v_cmp_eq_u32_e32 vcc, v8, v0
	s_and_saveexec_b64 s[0:1], vcc
	s_cbranch_execz .LBB10_2
; %bb.1:
	v_lshlrev_b32_e32 v6, 2, v3
	ds_write_b32 v6, v7
.LBB10_2:
	s_or_b64 exec, exec, s[0:1]
	v_cmp_gt_u32_e32 vcc, 4, v0
	v_lshlrev_b32_e32 v6, 2, v0
	s_waitcnt lgkmcnt(0)
	s_barrier
	s_and_saveexec_b64 s[0:1], vcc
	s_cbranch_execz .LBB10_4
; %bb.3:
	ds_read_b32 v8, v6
	v_and_b32_e32 v9, 3, v1
	v_cmp_ne_u32_e32 vcc, 0, v9
	s_waitcnt lgkmcnt(0)
	v_mov_b32_dpp v10, v8 row_shr:1 row_mask:0xf bank_mask:0xf
	v_cndmask_b32_e32 v10, 0, v10, vcc
	v_add_u32_e32 v8, v10, v8
	v_cmp_lt_u32_e32 vcc, 1, v9
	s_nop 0
	v_mov_b32_dpp v10, v8 row_shr:2 row_mask:0xf bank_mask:0xf
	v_cndmask_b32_e32 v9, 0, v10, vcc
	v_add_u32_e32 v8, v8, v9
	ds_write_b32 v6, v8
.LBB10_4:
	s_or_b64 exec, exec, s[0:1]
	v_cmp_lt_u32_e32 vcc, 63, v0
	v_mov_b32_e32 v8, 0
	v_mov_b32_e32 v9, 0
	s_waitcnt lgkmcnt(0)
	s_barrier
	s_and_saveexec_b64 s[0:1], vcc
	s_cbranch_execz .LBB10_6
; %bb.5:
	v_lshl_add_u32 v3, v3, 2, -4
	ds_read_b32 v9, v3
.LBB10_6:
	s_or_b64 exec, exec, s[0:1]
	s_waitcnt lgkmcnt(0)
	v_add_u32_e32 v3, v9, v7
	v_add_u32_e32 v7, -1, v1
	v_and_b32_e32 v10, 64, v1
	v_cmp_lt_i32_e32 vcc, v7, v10
	v_cndmask_b32_e32 v7, v7, v1, vcc
	v_lshlrev_b32_e32 v7, 2, v7
	ds_bpermute_b32 v3, v7, v3
	ds_read_b32 v7, v8 offset:12
	v_cmp_eq_u32_e32 vcc, 0, v1
	s_mov_b32 s1, 0
	s_waitcnt lgkmcnt(0)
	v_cndmask_b32_e32 v1, v3, v9, vcc
	v_cmp_eq_u32_e32 vcc, 0, v7
	v_readfirstlane_b32 s6, v7
	v_lshlrev_b32_e32 v3, 3, v0
	s_and_b64 vcc, exec, vcc
	s_barrier
	s_waitcnt vmcnt(0)
	ds_write_b64 v3, v[4:5]
	ds_write_b32 v6, v1 offset:2048
	s_waitcnt lgkmcnt(0)
	s_barrier
	s_cbranch_vccnz .LBB10_115
; %bb.7:
	s_load_dwordx2 s[2:3], s[4:5], 0x10
	v_mov_b32_e32 v1, 0
	ds_read_b32 v33, v1 offset:2560
	v_mul_u32_u24_e32 v32, 14, v0
	v_mul_lo_u32 v0, v2, 14
	v_lshlrev_b64 v[2:3], 3, v[0:1]
	s_waitcnt lgkmcnt(0)
	v_mov_b32_e32 v4, s3
	v_add_co_u32_e32 v1, vcc, s2, v2
	v_addc_co_u32_e32 v34, vcc, v4, v3, vcc
	v_or_b32_e32 v35, 1, v0
	v_add_u32_e32 v36, 2, v0
	v_add_u32_e32 v37, 3, v0
	;; [unrolled: 1-line block ×12, first 2 shown]
	v_mov_b32_e32 v48, 0x81
	v_mov_b32_e32 v49, 0x100
	v_mov_b32_e32 v50, 0x80
	v_mov_b32_e32 v51, 0xc0
	s_movk_i32 s7, 0xff
	s_mov_b32 s8, s6
	s_mov_b32 s0, s1
	s_branch .LBB10_9
.LBB10_8:                               ;   in Loop: Header=BB10_9 Depth=1
	s_or_b64 exec, exec, s[2:3]
	s_addk_i32 s0, 0xe00
	s_addk_i32 s8, 0xf200
	s_cmp_lt_u32 s0, s6
	s_cbranch_scc0 .LBB10_115
.LBB10_9:                               ; =>This Inner Loop Header: Depth=1
	s_waitcnt lgkmcnt(0)
	v_add_u32_e32 v28, s0, v32
	v_cmp_gt_u32_e32 vcc, v33, v28
	v_cndmask_b32_e64 v3, v51, 64, vcc
	v_lshlrev_b32_e32 v4, 2, v3
	ds_read_b32 v4, v4 offset:2048
	v_cndmask_b32_e64 v2, v48, 0, vcc
	v_cndmask_b32_e32 v5, v49, v50, vcc
	v_or_b32_e32 v6, 1, v3
	s_waitcnt lgkmcnt(0)
	v_cmp_gt_u32_e32 vcc, v4, v28
	v_cndmask_b32_e32 v2, v6, v2, vcc
	v_cndmask_b32_e32 v3, v5, v3, vcc
	v_sub_u32_e32 v4, v3, v2
	v_lshrrev_b16_e32 v5, 15, v4
	v_add_u16_e32 v4, v4, v5
	v_ashrrev_i16_e32 v4, 1, v4
	v_add_u32_sdwa v4, v2, sext(v4) dst_sel:DWORD dst_unused:UNUSED_PAD src0_sel:DWORD src1_sel:WORD_0
	v_min_i32_e32 v4, 0xff, v4
	v_lshlrev_b32_e32 v5, 2, v4
	ds_read_b32 v5, v5 offset:2048
	v_add_u32_e32 v6, 1, v4
	s_waitcnt lgkmcnt(0)
	v_cmp_gt_u32_e32 vcc, v5, v28
	v_cndmask_b32_e32 v2, v6, v2, vcc
	v_cndmask_b32_e32 v3, v3, v4, vcc
	v_sub_u32_e32 v4, v3, v2
	v_lshrrev_b16_e32 v5, 15, v4
	v_add_u16_e32 v4, v4, v5
	v_ashrrev_i16_e32 v4, 1, v4
	v_add_u32_sdwa v4, v2, sext(v4) dst_sel:DWORD dst_unused:UNUSED_PAD src0_sel:DWORD src1_sel:WORD_0
	v_min_i32_e32 v4, 0xff, v4
	v_lshlrev_b32_e32 v5, 2, v4
	ds_read_b32 v5, v5 offset:2048
	v_add_u32_e32 v6, 1, v4
	;; [unrolled: 13-line block ×7, first 2 shown]
	s_waitcnt lgkmcnt(0)
	v_cmp_gt_u32_e32 vcc, v4, v28
	v_cndmask_b32_e32 v6, v3, v2, vcc
	v_add_u32_e32 v30, -1, v6
	v_cmp_ne_u32_e32 vcc, s7, v30
                                        ; implicit-def: $vgpr4
	s_and_saveexec_b64 s[2:3], vcc
	s_xor_b64 s[2:3], exec, s[2:3]
	s_cbranch_execz .LBB10_11
; %bb.10:                               ;   in Loop: Header=BB10_9 Depth=1
	v_lshlrev_b32_e32 v2, 2, v6
	ds_read_b32 v4, v2 offset:2048
.LBB10_11:                              ;   in Loop: Header=BB10_9 Depth=1
	s_andn2_saveexec_b64 s[2:3], s[2:3]
	s_cbranch_execz .LBB10_13
; %bb.12:                               ;   in Loop: Header=BB10_9 Depth=1
	s_waitcnt lgkmcnt(0)
	v_add_u32_e32 v4, 14, v28
.LBB10_13:                              ;   in Loop: Header=BB10_9 Depth=1
	s_or_b64 exec, exec, s[2:3]
	v_lshlrev_b32_e32 v2, 3, v30
	ds_read_b64 v[2:3], v2
	s_waitcnt lgkmcnt(1)
	v_add_u32_e32 v29, -1, v4
	v_cmp_eq_u32_e32 vcc, v28, v29
	s_waitcnt lgkmcnt(0)
	v_pk_mov_b32 v[4:5], v[2:3], v[2:3] op_sel:[0,1]
	s_and_saveexec_b64 s[2:3], vcc
	s_cbranch_execz .LBB10_19
; %bb.14:                               ;   in Loop: Header=BB10_9 Depth=1
	v_cmp_ne_u32_e32 vcc, s7, v6
                                        ; implicit-def: $vgpr7
	s_and_saveexec_b64 s[4:5], vcc
	s_xor_b64 s[4:5], exec, s[4:5]
	s_cbranch_execz .LBB10_16
; %bb.15:                               ;   in Loop: Header=BB10_9 Depth=1
	v_lshlrev_b32_e32 v4, 2, v6
	ds_read_b32 v7, v4 offset:2052
.LBB10_16:                              ;   in Loop: Header=BB10_9 Depth=1
	s_andn2_saveexec_b64 s[4:5], s[4:5]
	s_cbranch_execz .LBB10_18
; %bb.17:                               ;   in Loop: Header=BB10_9 Depth=1
	s_waitcnt lgkmcnt(0)
	v_add_u32_e32 v7, 14, v28
.LBB10_18:                              ;   in Loop: Header=BB10_9 Depth=1
	s_or_b64 exec, exec, s[4:5]
	v_lshlrev_b32_e32 v4, 3, v6
	ds_read_b64 v[4:5], v4
	s_waitcnt lgkmcnt(1)
	v_add_u32_e32 v29, -1, v7
	v_mov_b32_e32 v30, v6
.LBB10_19:                              ;   in Loop: Header=BB10_9 Depth=1
	s_or_b64 exec, exec, s[2:3]
	v_add_u32_e32 v6, 1, v28
	v_cmp_eq_u32_e32 vcc, v6, v29
	s_waitcnt lgkmcnt(0)
	v_pk_mov_b32 v[6:7], v[4:5], v[4:5] op_sel:[0,1]
	s_and_saveexec_b64 s[2:3], vcc
	s_cbranch_execz .LBB10_25
; %bb.20:                               ;   in Loop: Header=BB10_9 Depth=1
	v_add_u32_e32 v8, 1, v30
	v_cmp_ne_u32_e32 vcc, s7, v8
                                        ; implicit-def: $vgpr9
	s_and_saveexec_b64 s[4:5], vcc
	s_xor_b64 s[4:5], exec, s[4:5]
	s_cbranch_execz .LBB10_22
; %bb.21:                               ;   in Loop: Header=BB10_9 Depth=1
	v_lshlrev_b32_e32 v6, 2, v30
	ds_read_b32 v9, v6 offset:2056
.LBB10_22:                              ;   in Loop: Header=BB10_9 Depth=1
	s_andn2_saveexec_b64 s[4:5], s[4:5]
	s_cbranch_execz .LBB10_24
; %bb.23:                               ;   in Loop: Header=BB10_9 Depth=1
	s_waitcnt lgkmcnt(0)
	v_add_u32_e32 v9, 15, v28
.LBB10_24:                              ;   in Loop: Header=BB10_9 Depth=1
	s_or_b64 exec, exec, s[4:5]
	v_lshlrev_b32_e32 v6, 3, v8
	ds_read_b64 v[6:7], v6
	s_waitcnt lgkmcnt(1)
	v_add_u32_e32 v29, -1, v9
	v_mov_b32_e32 v30, v8
.LBB10_25:                              ;   in Loop: Header=BB10_9 Depth=1
	s_or_b64 exec, exec, s[2:3]
	v_add_u32_e32 v8, 2, v28
	v_cmp_eq_u32_e32 vcc, v8, v29
	s_waitcnt lgkmcnt(0)
	v_pk_mov_b32 v[8:9], v[6:7], v[6:7] op_sel:[0,1]
	s_and_saveexec_b64 s[2:3], vcc
	s_cbranch_execz .LBB10_31
; %bb.26:                               ;   in Loop: Header=BB10_9 Depth=1
	v_add_u32_e32 v10, 1, v30
	v_cmp_ne_u32_e32 vcc, s7, v10
                                        ; implicit-def: $vgpr11
	s_and_saveexec_b64 s[4:5], vcc
	s_xor_b64 s[4:5], exec, s[4:5]
	s_cbranch_execz .LBB10_28
; %bb.27:                               ;   in Loop: Header=BB10_9 Depth=1
	v_lshlrev_b32_e32 v8, 2, v30
	ds_read_b32 v11, v8 offset:2056
.LBB10_28:                              ;   in Loop: Header=BB10_9 Depth=1
	s_andn2_saveexec_b64 s[4:5], s[4:5]
	s_cbranch_execz .LBB10_30
; %bb.29:                               ;   in Loop: Header=BB10_9 Depth=1
	s_waitcnt lgkmcnt(0)
	v_add_u32_e32 v11, 16, v28
.LBB10_30:                              ;   in Loop: Header=BB10_9 Depth=1
	s_or_b64 exec, exec, s[4:5]
	v_lshlrev_b32_e32 v8, 3, v10
	ds_read_b64 v[8:9], v8
	s_waitcnt lgkmcnt(1)
	v_add_u32_e32 v29, -1, v11
	v_mov_b32_e32 v30, v10
.LBB10_31:                              ;   in Loop: Header=BB10_9 Depth=1
	s_or_b64 exec, exec, s[2:3]
	v_add_u32_e32 v10, 3, v28
	v_cmp_eq_u32_e32 vcc, v10, v29
	s_waitcnt lgkmcnt(0)
	v_pk_mov_b32 v[10:11], v[8:9], v[8:9] op_sel:[0,1]
	s_and_saveexec_b64 s[2:3], vcc
	s_cbranch_execz .LBB10_37
; %bb.32:                               ;   in Loop: Header=BB10_9 Depth=1
	v_add_u32_e32 v12, 1, v30
	v_cmp_ne_u32_e32 vcc, s7, v12
                                        ; implicit-def: $vgpr13
	s_and_saveexec_b64 s[4:5], vcc
	s_xor_b64 s[4:5], exec, s[4:5]
	s_cbranch_execz .LBB10_34
; %bb.33:                               ;   in Loop: Header=BB10_9 Depth=1
	v_lshlrev_b32_e32 v10, 2, v30
	ds_read_b32 v13, v10 offset:2056
.LBB10_34:                              ;   in Loop: Header=BB10_9 Depth=1
	s_andn2_saveexec_b64 s[4:5], s[4:5]
	s_cbranch_execz .LBB10_36
; %bb.35:                               ;   in Loop: Header=BB10_9 Depth=1
	s_waitcnt lgkmcnt(0)
	v_add_u32_e32 v13, 17, v28
.LBB10_36:                              ;   in Loop: Header=BB10_9 Depth=1
	s_or_b64 exec, exec, s[4:5]
	v_lshlrev_b32_e32 v10, 3, v12
	ds_read_b64 v[10:11], v10
	s_waitcnt lgkmcnt(1)
	v_add_u32_e32 v29, -1, v13
	v_mov_b32_e32 v30, v12
.LBB10_37:                              ;   in Loop: Header=BB10_9 Depth=1
	s_or_b64 exec, exec, s[2:3]
	v_add_u32_e32 v12, 4, v28
	v_cmp_eq_u32_e32 vcc, v12, v29
	s_waitcnt lgkmcnt(0)
	v_pk_mov_b32 v[12:13], v[10:11], v[10:11] op_sel:[0,1]
	s_and_saveexec_b64 s[2:3], vcc
	s_cbranch_execz .LBB10_43
; %bb.38:                               ;   in Loop: Header=BB10_9 Depth=1
	v_add_u32_e32 v14, 1, v30
	v_cmp_ne_u32_e32 vcc, s7, v14
                                        ; implicit-def: $vgpr15
	s_and_saveexec_b64 s[4:5], vcc
	s_xor_b64 s[4:5], exec, s[4:5]
	s_cbranch_execz .LBB10_40
; %bb.39:                               ;   in Loop: Header=BB10_9 Depth=1
	v_lshlrev_b32_e32 v12, 2, v30
	ds_read_b32 v15, v12 offset:2056
.LBB10_40:                              ;   in Loop: Header=BB10_9 Depth=1
	s_andn2_saveexec_b64 s[4:5], s[4:5]
	s_cbranch_execz .LBB10_42
; %bb.41:                               ;   in Loop: Header=BB10_9 Depth=1
	s_waitcnt lgkmcnt(0)
	v_add_u32_e32 v15, 18, v28
.LBB10_42:                              ;   in Loop: Header=BB10_9 Depth=1
	s_or_b64 exec, exec, s[4:5]
	v_lshlrev_b32_e32 v12, 3, v14
	ds_read_b64 v[12:13], v12
	s_waitcnt lgkmcnt(1)
	v_add_u32_e32 v29, -1, v15
	v_mov_b32_e32 v30, v14
.LBB10_43:                              ;   in Loop: Header=BB10_9 Depth=1
	s_or_b64 exec, exec, s[2:3]
	v_add_u32_e32 v14, 5, v28
	v_cmp_eq_u32_e32 vcc, v14, v29
	s_waitcnt lgkmcnt(0)
	v_pk_mov_b32 v[14:15], v[12:13], v[12:13] op_sel:[0,1]
	s_and_saveexec_b64 s[2:3], vcc
	s_cbranch_execz .LBB10_49
; %bb.44:                               ;   in Loop: Header=BB10_9 Depth=1
	v_add_u32_e32 v16, 1, v30
	v_cmp_ne_u32_e32 vcc, s7, v16
                                        ; implicit-def: $vgpr17
	s_and_saveexec_b64 s[4:5], vcc
	s_xor_b64 s[4:5], exec, s[4:5]
	s_cbranch_execz .LBB10_46
; %bb.45:                               ;   in Loop: Header=BB10_9 Depth=1
	v_lshlrev_b32_e32 v14, 2, v30
	ds_read_b32 v17, v14 offset:2056
.LBB10_46:                              ;   in Loop: Header=BB10_9 Depth=1
	s_andn2_saveexec_b64 s[4:5], s[4:5]
	s_cbranch_execz .LBB10_48
; %bb.47:                               ;   in Loop: Header=BB10_9 Depth=1
	s_waitcnt lgkmcnt(0)
	v_add_u32_e32 v17, 19, v28
.LBB10_48:                              ;   in Loop: Header=BB10_9 Depth=1
	s_or_b64 exec, exec, s[4:5]
	v_lshlrev_b32_e32 v14, 3, v16
	ds_read_b64 v[14:15], v14
	s_waitcnt lgkmcnt(1)
	v_add_u32_e32 v29, -1, v17
	v_mov_b32_e32 v30, v16
.LBB10_49:                              ;   in Loop: Header=BB10_9 Depth=1
	s_or_b64 exec, exec, s[2:3]
	v_add_u32_e32 v16, 6, v28
	v_cmp_eq_u32_e32 vcc, v16, v29
	s_waitcnt lgkmcnt(0)
	v_pk_mov_b32 v[16:17], v[14:15], v[14:15] op_sel:[0,1]
	s_and_saveexec_b64 s[2:3], vcc
	s_cbranch_execz .LBB10_55
; %bb.50:                               ;   in Loop: Header=BB10_9 Depth=1
	v_add_u32_e32 v18, 1, v30
	v_cmp_ne_u32_e32 vcc, s7, v18
                                        ; implicit-def: $vgpr19
	s_and_saveexec_b64 s[4:5], vcc
	s_xor_b64 s[4:5], exec, s[4:5]
	s_cbranch_execz .LBB10_52
; %bb.51:                               ;   in Loop: Header=BB10_9 Depth=1
	v_lshlrev_b32_e32 v16, 2, v30
	ds_read_b32 v19, v16 offset:2056
.LBB10_52:                              ;   in Loop: Header=BB10_9 Depth=1
	s_andn2_saveexec_b64 s[4:5], s[4:5]
	s_cbranch_execz .LBB10_54
; %bb.53:                               ;   in Loop: Header=BB10_9 Depth=1
	s_waitcnt lgkmcnt(0)
	v_add_u32_e32 v19, 20, v28
.LBB10_54:                              ;   in Loop: Header=BB10_9 Depth=1
	s_or_b64 exec, exec, s[4:5]
	v_lshlrev_b32_e32 v16, 3, v18
	ds_read_b64 v[16:17], v16
	s_waitcnt lgkmcnt(1)
	v_add_u32_e32 v29, -1, v19
	v_mov_b32_e32 v30, v18
.LBB10_55:                              ;   in Loop: Header=BB10_9 Depth=1
	s_or_b64 exec, exec, s[2:3]
	v_add_u32_e32 v18, 7, v28
	v_cmp_eq_u32_e32 vcc, v18, v29
	s_waitcnt lgkmcnt(0)
	v_pk_mov_b32 v[18:19], v[16:17], v[16:17] op_sel:[0,1]
	s_and_saveexec_b64 s[2:3], vcc
	s_cbranch_execz .LBB10_61
; %bb.56:                               ;   in Loop: Header=BB10_9 Depth=1
	v_add_u32_e32 v20, 1, v30
	v_cmp_ne_u32_e32 vcc, s7, v20
                                        ; implicit-def: $vgpr21
	s_and_saveexec_b64 s[4:5], vcc
	s_xor_b64 s[4:5], exec, s[4:5]
	s_cbranch_execz .LBB10_58
; %bb.57:                               ;   in Loop: Header=BB10_9 Depth=1
	v_lshlrev_b32_e32 v18, 2, v30
	ds_read_b32 v21, v18 offset:2056
.LBB10_58:                              ;   in Loop: Header=BB10_9 Depth=1
	s_andn2_saveexec_b64 s[4:5], s[4:5]
	s_cbranch_execz .LBB10_60
; %bb.59:                               ;   in Loop: Header=BB10_9 Depth=1
	s_waitcnt lgkmcnt(0)
	v_add_u32_e32 v21, 21, v28
.LBB10_60:                              ;   in Loop: Header=BB10_9 Depth=1
	s_or_b64 exec, exec, s[4:5]
	v_lshlrev_b32_e32 v18, 3, v20
	ds_read_b64 v[18:19], v18
	s_waitcnt lgkmcnt(1)
	v_add_u32_e32 v29, -1, v21
	v_mov_b32_e32 v30, v20
.LBB10_61:                              ;   in Loop: Header=BB10_9 Depth=1
	s_or_b64 exec, exec, s[2:3]
	v_add_u32_e32 v20, 8, v28
	v_cmp_eq_u32_e32 vcc, v20, v29
	s_waitcnt lgkmcnt(0)
	v_pk_mov_b32 v[20:21], v[18:19], v[18:19] op_sel:[0,1]
	s_and_saveexec_b64 s[2:3], vcc
	s_cbranch_execz .LBB10_67
; %bb.62:                               ;   in Loop: Header=BB10_9 Depth=1
	v_add_u32_e32 v22, 1, v30
	v_cmp_ne_u32_e32 vcc, s7, v22
                                        ; implicit-def: $vgpr23
	s_and_saveexec_b64 s[4:5], vcc
	s_xor_b64 s[4:5], exec, s[4:5]
	s_cbranch_execz .LBB10_64
; %bb.63:                               ;   in Loop: Header=BB10_9 Depth=1
	v_lshlrev_b32_e32 v20, 2, v30
	ds_read_b32 v23, v20 offset:2056
.LBB10_64:                              ;   in Loop: Header=BB10_9 Depth=1
	s_andn2_saveexec_b64 s[4:5], s[4:5]
	s_cbranch_execz .LBB10_66
; %bb.65:                               ;   in Loop: Header=BB10_9 Depth=1
	s_waitcnt lgkmcnt(0)
	v_add_u32_e32 v23, 22, v28
.LBB10_66:                              ;   in Loop: Header=BB10_9 Depth=1
	s_or_b64 exec, exec, s[4:5]
	v_lshlrev_b32_e32 v20, 3, v22
	ds_read_b64 v[20:21], v20
	s_waitcnt lgkmcnt(1)
	v_add_u32_e32 v29, -1, v23
	v_mov_b32_e32 v30, v22
.LBB10_67:                              ;   in Loop: Header=BB10_9 Depth=1
	s_or_b64 exec, exec, s[2:3]
	v_add_u32_e32 v22, 9, v28
	v_cmp_eq_u32_e32 vcc, v22, v29
	s_waitcnt lgkmcnt(0)
	v_pk_mov_b32 v[22:23], v[20:21], v[20:21] op_sel:[0,1]
	s_and_saveexec_b64 s[2:3], vcc
	s_cbranch_execz .LBB10_73
; %bb.68:                               ;   in Loop: Header=BB10_9 Depth=1
	v_add_u32_e32 v24, 1, v30
	v_cmp_ne_u32_e32 vcc, s7, v24
                                        ; implicit-def: $vgpr25
	s_and_saveexec_b64 s[4:5], vcc
	s_xor_b64 s[4:5], exec, s[4:5]
	s_cbranch_execz .LBB10_70
; %bb.69:                               ;   in Loop: Header=BB10_9 Depth=1
	v_lshlrev_b32_e32 v22, 2, v30
	ds_read_b32 v25, v22 offset:2056
.LBB10_70:                              ;   in Loop: Header=BB10_9 Depth=1
	s_andn2_saveexec_b64 s[4:5], s[4:5]
	s_cbranch_execz .LBB10_72
; %bb.71:                               ;   in Loop: Header=BB10_9 Depth=1
	s_waitcnt lgkmcnt(0)
	v_add_u32_e32 v25, 23, v28
.LBB10_72:                              ;   in Loop: Header=BB10_9 Depth=1
	s_or_b64 exec, exec, s[4:5]
	v_lshlrev_b32_e32 v22, 3, v24
	ds_read_b64 v[22:23], v22
	s_waitcnt lgkmcnt(1)
	v_add_u32_e32 v29, -1, v25
	v_mov_b32_e32 v30, v24
.LBB10_73:                              ;   in Loop: Header=BB10_9 Depth=1
	s_or_b64 exec, exec, s[2:3]
	v_add_u32_e32 v24, 10, v28
	v_cmp_eq_u32_e32 vcc, v24, v29
	s_waitcnt lgkmcnt(0)
	v_pk_mov_b32 v[24:25], v[22:23], v[22:23] op_sel:[0,1]
	s_and_saveexec_b64 s[2:3], vcc
	s_cbranch_execz .LBB10_79
; %bb.74:                               ;   in Loop: Header=BB10_9 Depth=1
	v_add_u32_e32 v26, 1, v30
	v_cmp_ne_u32_e32 vcc, s7, v26
                                        ; implicit-def: $vgpr27
	s_and_saveexec_b64 s[4:5], vcc
	s_xor_b64 s[4:5], exec, s[4:5]
	s_cbranch_execz .LBB10_76
; %bb.75:                               ;   in Loop: Header=BB10_9 Depth=1
	v_lshlrev_b32_e32 v24, 2, v30
	ds_read_b32 v27, v24 offset:2056
.LBB10_76:                              ;   in Loop: Header=BB10_9 Depth=1
	s_andn2_saveexec_b64 s[4:5], s[4:5]
	s_cbranch_execz .LBB10_78
; %bb.77:                               ;   in Loop: Header=BB10_9 Depth=1
	s_waitcnt lgkmcnt(0)
	v_add_u32_e32 v27, 24, v28
.LBB10_78:                              ;   in Loop: Header=BB10_9 Depth=1
	s_or_b64 exec, exec, s[4:5]
	v_lshlrev_b32_e32 v24, 3, v26
	ds_read_b64 v[24:25], v24
	s_waitcnt lgkmcnt(1)
	v_add_u32_e32 v29, -1, v27
	v_mov_b32_e32 v30, v26
.LBB10_79:                              ;   in Loop: Header=BB10_9 Depth=1
	s_or_b64 exec, exec, s[2:3]
	v_add_u32_e32 v26, 11, v28
	v_cmp_eq_u32_e32 vcc, v26, v29
	s_waitcnt lgkmcnt(0)
	v_pk_mov_b32 v[26:27], v[24:25], v[24:25] op_sel:[0,1]
	s_and_saveexec_b64 s[2:3], vcc
	s_cbranch_execz .LBB10_85
; %bb.80:                               ;   in Loop: Header=BB10_9 Depth=1
	v_add_u32_e32 v31, 1, v30
	v_cmp_ne_u32_e32 vcc, s7, v31
                                        ; implicit-def: $vgpr29
	s_and_saveexec_b64 s[4:5], vcc
	s_xor_b64 s[4:5], exec, s[4:5]
	s_cbranch_execz .LBB10_82
; %bb.81:                               ;   in Loop: Header=BB10_9 Depth=1
	v_lshlrev_b32_e32 v26, 2, v30
	ds_read_b32 v29, v26 offset:2056
.LBB10_82:                              ;   in Loop: Header=BB10_9 Depth=1
	s_andn2_saveexec_b64 s[4:5], s[4:5]
	s_cbranch_execz .LBB10_84
; %bb.83:                               ;   in Loop: Header=BB10_9 Depth=1
	s_waitcnt lgkmcnt(0)
	v_add_u32_e32 v29, 25, v28
.LBB10_84:                              ;   in Loop: Header=BB10_9 Depth=1
	s_or_b64 exec, exec, s[4:5]
	v_lshlrev_b32_e32 v26, 3, v31
	ds_read_b64 v[26:27], v26
	s_waitcnt lgkmcnt(1)
	v_add_u32_e32 v29, -1, v29
	v_mov_b32_e32 v30, v31
.LBB10_85:                              ;   in Loop: Header=BB10_9 Depth=1
	s_or_b64 exec, exec, s[2:3]
	v_add_u32_e32 v28, 12, v28
	v_cmp_eq_u32_e32 vcc, v28, v29
	s_waitcnt lgkmcnt(0)
	v_pk_mov_b32 v[28:29], v[26:27], v[26:27] op_sel:[0,1]
	s_and_saveexec_b64 s[2:3], vcc
	s_cbranch_execz .LBB10_87
; %bb.86:                               ;   in Loop: Header=BB10_9 Depth=1
	v_lshlrev_b32_e32 v28, 3, v30
	ds_read_b64 v[28:29], v28 offset:8
.LBB10_87:                              ;   in Loop: Header=BB10_9 Depth=1
	s_or_b64 exec, exec, s[2:3]
	s_lshl_b64 s[2:3], s[0:1], 3
	v_mov_b32_e32 v31, s3
	v_add_co_u32_e32 v30, vcc, s2, v1
	s_min_u32 s4, s8, 0xe00
	v_addc_co_u32_e32 v31, vcc, v34, v31, vcc
	v_cmp_gt_u32_e32 vcc, s4, v0
	s_and_saveexec_b64 s[2:3], vcc
	s_cbranch_execnz .LBB10_101
; %bb.88:                               ;   in Loop: Header=BB10_9 Depth=1
	s_or_b64 exec, exec, s[2:3]
	v_cmp_gt_u32_e32 vcc, s4, v35
	s_and_saveexec_b64 s[2:3], vcc
	s_cbranch_execnz .LBB10_102
.LBB10_89:                              ;   in Loop: Header=BB10_9 Depth=1
	s_or_b64 exec, exec, s[2:3]
	v_cmp_gt_u32_e32 vcc, s4, v36
	s_and_saveexec_b64 s[2:3], vcc
	s_cbranch_execnz .LBB10_103
.LBB10_90:                              ;   in Loop: Header=BB10_9 Depth=1
	s_or_b64 exec, exec, s[2:3]
	v_cmp_gt_u32_e32 vcc, s4, v37
	s_and_saveexec_b64 s[2:3], vcc
	s_cbranch_execnz .LBB10_104
.LBB10_91:                              ;   in Loop: Header=BB10_9 Depth=1
	s_or_b64 exec, exec, s[2:3]
	v_cmp_gt_u32_e32 vcc, s4, v38
	s_and_saveexec_b64 s[2:3], vcc
	s_cbranch_execnz .LBB10_105
.LBB10_92:                              ;   in Loop: Header=BB10_9 Depth=1
	s_or_b64 exec, exec, s[2:3]
	v_cmp_gt_u32_e32 vcc, s4, v39
	s_and_saveexec_b64 s[2:3], vcc
	s_cbranch_execnz .LBB10_106
.LBB10_93:                              ;   in Loop: Header=BB10_9 Depth=1
	s_or_b64 exec, exec, s[2:3]
	v_cmp_gt_u32_e32 vcc, s4, v40
	s_and_saveexec_b64 s[2:3], vcc
	s_cbranch_execnz .LBB10_107
.LBB10_94:                              ;   in Loop: Header=BB10_9 Depth=1
	s_or_b64 exec, exec, s[2:3]
	v_cmp_gt_u32_e32 vcc, s4, v41
	s_and_saveexec_b64 s[2:3], vcc
	s_cbranch_execnz .LBB10_108
.LBB10_95:                              ;   in Loop: Header=BB10_9 Depth=1
	s_or_b64 exec, exec, s[2:3]
	v_cmp_gt_u32_e32 vcc, s4, v42
	s_and_saveexec_b64 s[2:3], vcc
	s_cbranch_execnz .LBB10_109
.LBB10_96:                              ;   in Loop: Header=BB10_9 Depth=1
	s_or_b64 exec, exec, s[2:3]
	v_cmp_gt_u32_e32 vcc, s4, v43
	s_and_saveexec_b64 s[2:3], vcc
	s_cbranch_execnz .LBB10_110
.LBB10_97:                              ;   in Loop: Header=BB10_9 Depth=1
	s_or_b64 exec, exec, s[2:3]
	v_cmp_gt_u32_e32 vcc, s4, v44
	s_and_saveexec_b64 s[2:3], vcc
	s_cbranch_execnz .LBB10_111
.LBB10_98:                              ;   in Loop: Header=BB10_9 Depth=1
	s_or_b64 exec, exec, s[2:3]
	v_cmp_gt_u32_e32 vcc, s4, v45
	s_and_saveexec_b64 s[2:3], vcc
	s_cbranch_execnz .LBB10_112
.LBB10_99:                              ;   in Loop: Header=BB10_9 Depth=1
	s_or_b64 exec, exec, s[2:3]
	v_cmp_gt_u32_e32 vcc, s4, v46
	s_and_saveexec_b64 s[2:3], vcc
	s_cbranch_execnz .LBB10_113
.LBB10_100:                             ;   in Loop: Header=BB10_9 Depth=1
	s_or_b64 exec, exec, s[2:3]
	v_cmp_gt_u32_e32 vcc, s4, v47
	s_and_saveexec_b64 s[2:3], vcc
	s_cbranch_execz .LBB10_8
	s_branch .LBB10_114
.LBB10_101:                             ;   in Loop: Header=BB10_9 Depth=1
	global_store_dwordx2 v[30:31], v[2:3], off
	s_or_b64 exec, exec, s[2:3]
	v_cmp_gt_u32_e32 vcc, s4, v35
	s_and_saveexec_b64 s[2:3], vcc
	s_cbranch_execz .LBB10_89
.LBB10_102:                             ;   in Loop: Header=BB10_9 Depth=1
	global_store_dwordx2 v[30:31], v[4:5], off offset:8
	s_or_b64 exec, exec, s[2:3]
	v_cmp_gt_u32_e32 vcc, s4, v36
	s_and_saveexec_b64 s[2:3], vcc
	s_cbranch_execz .LBB10_90
.LBB10_103:                             ;   in Loop: Header=BB10_9 Depth=1
	global_store_dwordx2 v[30:31], v[6:7], off offset:16
	s_or_b64 exec, exec, s[2:3]
	v_cmp_gt_u32_e32 vcc, s4, v37
	s_and_saveexec_b64 s[2:3], vcc
	s_cbranch_execz .LBB10_91
.LBB10_104:                             ;   in Loop: Header=BB10_9 Depth=1
	global_store_dwordx2 v[30:31], v[8:9], off offset:24
	s_or_b64 exec, exec, s[2:3]
	v_cmp_gt_u32_e32 vcc, s4, v38
	s_and_saveexec_b64 s[2:3], vcc
	s_cbranch_execz .LBB10_92
.LBB10_105:                             ;   in Loop: Header=BB10_9 Depth=1
	global_store_dwordx2 v[30:31], v[10:11], off offset:32
	s_or_b64 exec, exec, s[2:3]
	v_cmp_gt_u32_e32 vcc, s4, v39
	s_and_saveexec_b64 s[2:3], vcc
	s_cbranch_execz .LBB10_93
.LBB10_106:                             ;   in Loop: Header=BB10_9 Depth=1
	global_store_dwordx2 v[30:31], v[12:13], off offset:40
	s_or_b64 exec, exec, s[2:3]
	v_cmp_gt_u32_e32 vcc, s4, v40
	s_and_saveexec_b64 s[2:3], vcc
	s_cbranch_execz .LBB10_94
.LBB10_107:                             ;   in Loop: Header=BB10_9 Depth=1
	global_store_dwordx2 v[30:31], v[14:15], off offset:48
	s_or_b64 exec, exec, s[2:3]
	v_cmp_gt_u32_e32 vcc, s4, v41
	s_and_saveexec_b64 s[2:3], vcc
	s_cbranch_execz .LBB10_95
.LBB10_108:                             ;   in Loop: Header=BB10_9 Depth=1
	global_store_dwordx2 v[30:31], v[16:17], off offset:56
	s_or_b64 exec, exec, s[2:3]
	v_cmp_gt_u32_e32 vcc, s4, v42
	s_and_saveexec_b64 s[2:3], vcc
	s_cbranch_execz .LBB10_96
.LBB10_109:                             ;   in Loop: Header=BB10_9 Depth=1
	global_store_dwordx2 v[30:31], v[18:19], off offset:64
	s_or_b64 exec, exec, s[2:3]
	v_cmp_gt_u32_e32 vcc, s4, v43
	s_and_saveexec_b64 s[2:3], vcc
	s_cbranch_execz .LBB10_97
.LBB10_110:                             ;   in Loop: Header=BB10_9 Depth=1
	global_store_dwordx2 v[30:31], v[20:21], off offset:72
	s_or_b64 exec, exec, s[2:3]
	v_cmp_gt_u32_e32 vcc, s4, v44
	s_and_saveexec_b64 s[2:3], vcc
	s_cbranch_execz .LBB10_98
.LBB10_111:                             ;   in Loop: Header=BB10_9 Depth=1
	global_store_dwordx2 v[30:31], v[22:23], off offset:80
	s_or_b64 exec, exec, s[2:3]
	v_cmp_gt_u32_e32 vcc, s4, v45
	s_and_saveexec_b64 s[2:3], vcc
	s_cbranch_execz .LBB10_99
.LBB10_112:                             ;   in Loop: Header=BB10_9 Depth=1
	global_store_dwordx2 v[30:31], v[24:25], off offset:88
	s_or_b64 exec, exec, s[2:3]
	v_cmp_gt_u32_e32 vcc, s4, v46
	s_and_saveexec_b64 s[2:3], vcc
	s_cbranch_execz .LBB10_100
.LBB10_113:                             ;   in Loop: Header=BB10_9 Depth=1
	global_store_dwordx2 v[30:31], v[26:27], off offset:96
	s_or_b64 exec, exec, s[2:3]
	v_cmp_gt_u32_e32 vcc, s4, v47
	s_and_saveexec_b64 s[2:3], vcc
	s_cbranch_execz .LBB10_8
.LBB10_114:                             ;   in Loop: Header=BB10_9 Depth=1
	s_waitcnt lgkmcnt(0)
	global_store_dwordx2 v[30:31], v[28:29], off offset:104
	s_branch .LBB10_8
.LBB10_115:
	s_endpgm
	.section	.rodata,"a",@progbits
	.p2align	6, 0x0
	.amdhsa_kernel _Z30block_run_length_decode_kernelIdcLj256ELj1ELj14EEvPKT_PKT0_PS0_
		.amdhsa_group_segment_fixed_size 3072
		.amdhsa_private_segment_fixed_size 0
		.amdhsa_kernarg_size 24
		.amdhsa_user_sgpr_count 6
		.amdhsa_user_sgpr_private_segment_buffer 1
		.amdhsa_user_sgpr_dispatch_ptr 0
		.amdhsa_user_sgpr_queue_ptr 0
		.amdhsa_user_sgpr_kernarg_segment_ptr 1
		.amdhsa_user_sgpr_dispatch_id 0
		.amdhsa_user_sgpr_flat_scratch_init 0
		.amdhsa_user_sgpr_kernarg_preload_length 0
		.amdhsa_user_sgpr_kernarg_preload_offset 0
		.amdhsa_user_sgpr_private_segment_size 0
		.amdhsa_uses_dynamic_stack 0
		.amdhsa_system_sgpr_private_segment_wavefront_offset 0
		.amdhsa_system_sgpr_workgroup_id_x 1
		.amdhsa_system_sgpr_workgroup_id_y 0
		.amdhsa_system_sgpr_workgroup_id_z 0
		.amdhsa_system_sgpr_workgroup_info 0
		.amdhsa_system_vgpr_workitem_id 0
		.amdhsa_next_free_vgpr 52
		.amdhsa_next_free_sgpr 9
		.amdhsa_accum_offset 52
		.amdhsa_reserve_vcc 1
		.amdhsa_reserve_flat_scratch 0
		.amdhsa_float_round_mode_32 0
		.amdhsa_float_round_mode_16_64 0
		.amdhsa_float_denorm_mode_32 3
		.amdhsa_float_denorm_mode_16_64 3
		.amdhsa_dx10_clamp 1
		.amdhsa_ieee_mode 1
		.amdhsa_fp16_overflow 0
		.amdhsa_tg_split 0
		.amdhsa_exception_fp_ieee_invalid_op 0
		.amdhsa_exception_fp_denorm_src 0
		.amdhsa_exception_fp_ieee_div_zero 0
		.amdhsa_exception_fp_ieee_overflow 0
		.amdhsa_exception_fp_ieee_underflow 0
		.amdhsa_exception_fp_ieee_inexact 0
		.amdhsa_exception_int_div_zero 0
	.end_amdhsa_kernel
	.section	.text._Z30block_run_length_decode_kernelIdcLj256ELj1ELj14EEvPKT_PKT0_PS0_,"axG",@progbits,_Z30block_run_length_decode_kernelIdcLj256ELj1ELj14EEvPKT_PKT0_PS0_,comdat
.Lfunc_end10:
	.size	_Z30block_run_length_decode_kernelIdcLj256ELj1ELj14EEvPKT_PKT0_PS0_, .Lfunc_end10-_Z30block_run_length_decode_kernelIdcLj256ELj1ELj14EEvPKT_PKT0_PS0_
                                        ; -- End function
	.section	.AMDGPU.csdata,"",@progbits
; Kernel info:
; codeLenInByte = 3188
; NumSgprs: 13
; NumVgprs: 52
; NumAgprs: 0
; TotalNumVgprs: 52
; ScratchSize: 0
; MemoryBound: 0
; FloatMode: 240
; IeeeMode: 1
; LDSByteSize: 3072 bytes/workgroup (compile time only)
; SGPRBlocks: 1
; VGPRBlocks: 6
; NumSGPRsForWavesPerEU: 13
; NumVGPRsForWavesPerEU: 52
; AccumOffset: 52
; Occupancy: 8
; WaveLimiterHint : 0
; COMPUTE_PGM_RSRC2:SCRATCH_EN: 0
; COMPUTE_PGM_RSRC2:USER_SGPR: 6
; COMPUTE_PGM_RSRC2:TRAP_HANDLER: 0
; COMPUTE_PGM_RSRC2:TGID_X_EN: 1
; COMPUTE_PGM_RSRC2:TGID_Y_EN: 0
; COMPUTE_PGM_RSRC2:TGID_Z_EN: 0
; COMPUTE_PGM_RSRC2:TIDIG_COMP_CNT: 0
; COMPUTE_PGM_RSRC3_GFX90A:ACCUM_OFFSET: 12
; COMPUTE_PGM_RSRC3_GFX90A:TG_SPLIT: 0
	.section	.text._Z30block_run_length_decode_kernelIiiLj256ELj1ELj14EEvPKT_PKT0_PS0_,"axG",@progbits,_Z30block_run_length_decode_kernelIiiLj256ELj1ELj14EEvPKT_PKT0_PS0_,comdat
	.protected	_Z30block_run_length_decode_kernelIiiLj256ELj1ELj14EEvPKT_PKT0_PS0_ ; -- Begin function _Z30block_run_length_decode_kernelIiiLj256ELj1ELj14EEvPKT_PKT0_PS0_
	.globl	_Z30block_run_length_decode_kernelIiiLj256ELj1ELj14EEvPKT_PKT0_PS0_
	.p2align	8
	.type	_Z30block_run_length_decode_kernelIiiLj256ELj1ELj14EEvPKT_PKT0_PS0_,@function
_Z30block_run_length_decode_kernelIiiLj256ELj1ELj14EEvPKT_PKT0_PS0_: ; @_Z30block_run_length_decode_kernelIiiLj256ELj1ELj14EEvPKT_PKT0_PS0_
; %bb.0:
	s_load_dwordx4 s[0:3], s[4:5], 0x0
	v_lshl_or_b32 v2, s6, 8, v0
	v_mov_b32_e32 v3, 0
	v_lshlrev_b64 v[4:5], 2, v[2:3]
	v_mbcnt_lo_u32_b32 v3, -1, 0
	s_waitcnt lgkmcnt(0)
	v_mov_b32_e32 v1, s3
	v_add_co_u32_e32 v6, vcc, s2, v4
	v_addc_co_u32_e32 v7, vcc, v1, v5, vcc
	global_load_dword v6, v[6:7], off
	v_mov_b32_e32 v1, s1
	v_add_co_u32_e32 v4, vcc, s0, v4
	v_addc_co_u32_e32 v5, vcc, v1, v5, vcc
	global_load_dword v1, v[4:5], off
	v_mbcnt_hi_u32_b32 v3, -1, v3
	v_and_b32_e32 v7, 15, v3
	v_cmp_ne_u32_e32 vcc, 0, v7
	v_bfe_i32 v8, v3, 4, 1
	v_or_b32_e32 v5, 63, v0
	v_lshrrev_b32_e32 v4, 6, v0
	s_waitcnt vmcnt(1)
	v_mov_b32_dpp v9, v6 row_shr:1 row_mask:0xf bank_mask:0xf
	v_cndmask_b32_e32 v9, 0, v9, vcc
	v_add_u32_e32 v6, v9, v6
	v_cmp_lt_u32_e32 vcc, 1, v7
	s_nop 0
	v_mov_b32_dpp v9, v6 row_shr:2 row_mask:0xf bank_mask:0xf
	v_cndmask_b32_e32 v9, 0, v9, vcc
	v_add_u32_e32 v6, v6, v9
	v_cmp_lt_u32_e32 vcc, 3, v7
	s_nop 0
	;; [unrolled: 5-line block ×4, first 2 shown]
	v_mov_b32_dpp v7, v6 row_bcast:15 row_mask:0xf bank_mask:0xf
	v_and_b32_e32 v7, v8, v7
	v_add_u32_e32 v6, v6, v7
	s_nop 1
	v_mov_b32_dpp v7, v6 row_bcast:31 row_mask:0xf bank_mask:0xf
	v_cndmask_b32_e32 v7, 0, v7, vcc
	v_add_u32_e32 v6, v6, v7
	v_cmp_eq_u32_e32 vcc, v5, v0
	s_and_saveexec_b64 s[0:1], vcc
	s_cbranch_execz .LBB11_2
; %bb.1:
	v_lshlrev_b32_e32 v5, 2, v4
	ds_write_b32 v5, v6
.LBB11_2:
	s_or_b64 exec, exec, s[0:1]
	v_cmp_gt_u32_e32 vcc, 4, v0
	v_lshlrev_b32_e32 v5, 2, v0
	s_waitcnt lgkmcnt(0)
	s_barrier
	s_and_saveexec_b64 s[0:1], vcc
	s_cbranch_execz .LBB11_4
; %bb.3:
	ds_read_b32 v7, v5
	v_and_b32_e32 v8, 3, v3
	v_cmp_ne_u32_e32 vcc, 0, v8
	s_waitcnt lgkmcnt(0)
	v_mov_b32_dpp v9, v7 row_shr:1 row_mask:0xf bank_mask:0xf
	v_cndmask_b32_e32 v9, 0, v9, vcc
	v_add_u32_e32 v7, v9, v7
	v_cmp_lt_u32_e32 vcc, 1, v8
	s_nop 0
	v_mov_b32_dpp v9, v7 row_shr:2 row_mask:0xf bank_mask:0xf
	v_cndmask_b32_e32 v8, 0, v9, vcc
	v_add_u32_e32 v7, v7, v8
	ds_write_b32 v5, v7
.LBB11_4:
	s_or_b64 exec, exec, s[0:1]
	v_cmp_lt_u32_e32 vcc, 63, v0
	v_mov_b32_e32 v7, 0
	v_mov_b32_e32 v8, 0
	s_waitcnt lgkmcnt(0)
	s_barrier
	s_and_saveexec_b64 s[0:1], vcc
	s_cbranch_execz .LBB11_6
; %bb.5:
	v_lshl_add_u32 v4, v4, 2, -4
	ds_read_b32 v8, v4
.LBB11_6:
	s_or_b64 exec, exec, s[0:1]
	s_waitcnt lgkmcnt(0)
	v_add_u32_e32 v4, v8, v6
	v_add_u32_e32 v6, -1, v3
	v_and_b32_e32 v9, 64, v3
	v_cmp_lt_i32_e32 vcc, v6, v9
	v_cndmask_b32_e32 v6, v6, v3, vcc
	v_lshlrev_b32_e32 v6, 2, v6
	ds_bpermute_b32 v4, v6, v4
	ds_read_b32 v6, v7 offset:12
	v_cmp_eq_u32_e32 vcc, 0, v3
	s_mov_b32 s1, 0
	s_waitcnt lgkmcnt(0)
	v_cndmask_b32_e32 v3, v4, v8, vcc
	v_cmp_eq_u32_e32 vcc, 0, v6
	v_readfirstlane_b32 s6, v6
	s_and_b64 vcc, exec, vcc
	s_barrier
	s_waitcnt vmcnt(0)
	ds_write2st64_b32 v5, v1, v3 offset1:4
	s_waitcnt lgkmcnt(0)
	s_barrier
	s_cbranch_vccnz .LBB11_115
; %bb.7:
	s_load_dwordx2 s[2:3], s[4:5], 0x10
	v_mov_b32_e32 v1, 0
	ds_read_b32 v5, v1 offset:1536
	v_mul_u32_u24_e32 v4, 14, v0
	v_mul_lo_u32 v0, v2, 14
	v_lshlrev_b64 v[2:3], 2, v[0:1]
	s_waitcnt lgkmcnt(0)
	v_mov_b32_e32 v6, s3
	v_add_co_u32_e32 v1, vcc, s2, v2
	v_addc_co_u32_e32 v6, vcc, v6, v3, vcc
	v_or_b32_e32 v7, 1, v0
	v_add_u32_e32 v8, 2, v0
	v_add_u32_e32 v9, 3, v0
	v_add_u32_e32 v10, 4, v0
	v_add_u32_e32 v11, 5, v0
	v_add_u32_e32 v12, 6, v0
	v_add_u32_e32 v13, 7, v0
	v_add_u32_e32 v14, 8, v0
	v_add_u32_e32 v15, 9, v0
	v_add_u32_e32 v16, 10, v0
	v_add_u32_e32 v17, 11, v0
	v_add_u32_e32 v18, 12, v0
	v_add_u32_e32 v19, 13, v0
	v_mov_b32_e32 v20, 0x81
	v_mov_b32_e32 v21, 0x100
	;; [unrolled: 1-line block ×4, first 2 shown]
	s_movk_i32 s7, 0xff
	s_mov_b32 s8, s6
	s_mov_b32 s0, s1
	s_branch .LBB11_9
.LBB11_8:                               ;   in Loop: Header=BB11_9 Depth=1
	s_or_b64 exec, exec, s[2:3]
	s_addk_i32 s0, 0xe00
	s_addk_i32 s8, 0xf200
	s_cmp_lt_u32 s0, s6
	s_cbranch_scc0 .LBB11_115
.LBB11_9:                               ; =>This Inner Loop Header: Depth=1
	v_add_u32_e32 v2, s0, v4
	v_cmp_gt_u32_e32 vcc, v5, v2
	v_cndmask_b32_e64 v24, v23, 64, vcc
	v_lshlrev_b32_e32 v25, 2, v24
	ds_read_b32 v25, v25 offset:1024
	v_cndmask_b32_e64 v3, v20, 0, vcc
	v_cndmask_b32_e32 v26, v21, v22, vcc
	v_or_b32_e32 v27, 1, v24
	s_waitcnt lgkmcnt(0)
	v_cmp_gt_u32_e32 vcc, v25, v2
	v_cndmask_b32_e32 v3, v27, v3, vcc
	v_cndmask_b32_e32 v24, v26, v24, vcc
	v_sub_u32_e32 v25, v24, v3
	v_lshrrev_b16_e32 v26, 15, v25
	v_add_u16_e32 v25, v25, v26
	v_ashrrev_i16_e32 v25, 1, v25
	v_add_u32_sdwa v25, v3, sext(v25) dst_sel:DWORD dst_unused:UNUSED_PAD src0_sel:DWORD src1_sel:WORD_0
	v_min_i32_e32 v25, 0xff, v25
	v_lshlrev_b32_e32 v26, 2, v25
	ds_read_b32 v26, v26 offset:1024
	v_add_u32_e32 v27, 1, v25
	s_waitcnt lgkmcnt(0)
	v_cmp_gt_u32_e32 vcc, v26, v2
	v_cndmask_b32_e32 v3, v27, v3, vcc
	v_cndmask_b32_e32 v24, v24, v25, vcc
	v_sub_u32_e32 v25, v24, v3
	v_lshrrev_b16_e32 v26, 15, v25
	v_add_u16_e32 v25, v25, v26
	v_ashrrev_i16_e32 v25, 1, v25
	v_add_u32_sdwa v25, v3, sext(v25) dst_sel:DWORD dst_unused:UNUSED_PAD src0_sel:DWORD src1_sel:WORD_0
	v_min_i32_e32 v25, 0xff, v25
	v_lshlrev_b32_e32 v26, 2, v25
	ds_read_b32 v26, v26 offset:1024
	v_add_u32_e32 v27, 1, v25
	;; [unrolled: 13-line block ×7, first 2 shown]
	s_waitcnt lgkmcnt(0)
	v_cmp_gt_u32_e32 vcc, v25, v2
	v_cndmask_b32_e32 v26, v24, v3, vcc
	v_add_u32_e32 v3, -1, v26
	v_cmp_ne_u32_e32 vcc, s7, v3
                                        ; implicit-def: $vgpr25
	s_and_saveexec_b64 s[2:3], vcc
	s_xor_b64 s[2:3], exec, s[2:3]
	s_cbranch_execz .LBB11_11
; %bb.10:                               ;   in Loop: Header=BB11_9 Depth=1
	v_lshlrev_b32_e32 v24, 2, v26
	ds_read_b32 v25, v24 offset:1024
.LBB11_11:                              ;   in Loop: Header=BB11_9 Depth=1
	s_andn2_saveexec_b64 s[2:3], s[2:3]
	s_cbranch_execz .LBB11_13
; %bb.12:                               ;   in Loop: Header=BB11_9 Depth=1
	s_waitcnt lgkmcnt(0)
	v_add_u32_e32 v25, 14, v2
.LBB11_13:                              ;   in Loop: Header=BB11_9 Depth=1
	s_or_b64 exec, exec, s[2:3]
	v_lshlrev_b32_e32 v24, 2, v3
	ds_read_b32 v24, v24
	s_waitcnt lgkmcnt(1)
	v_add_u32_e32 v34, -1, v25
	v_cmp_eq_u32_e32 vcc, v2, v34
	s_waitcnt lgkmcnt(0)
	v_mov_b32_e32 v25, v24
	s_and_saveexec_b64 s[2:3], vcc
	s_cbranch_execz .LBB11_19
; %bb.14:                               ;   in Loop: Header=BB11_9 Depth=1
	v_cmp_ne_u32_e32 vcc, s7, v26
	v_lshlrev_b32_e32 v3, 2, v26
                                        ; implicit-def: $vgpr27
	s_and_saveexec_b64 s[4:5], vcc
	s_xor_b64 s[4:5], exec, s[4:5]
	s_cbranch_execz .LBB11_16
; %bb.15:                               ;   in Loop: Header=BB11_9 Depth=1
	ds_read_b32 v27, v3 offset:1028
.LBB11_16:                              ;   in Loop: Header=BB11_9 Depth=1
	s_andn2_saveexec_b64 s[4:5], s[4:5]
	s_cbranch_execz .LBB11_18
; %bb.17:                               ;   in Loop: Header=BB11_9 Depth=1
	s_waitcnt lgkmcnt(0)
	v_add_u32_e32 v27, 14, v2
.LBB11_18:                              ;   in Loop: Header=BB11_9 Depth=1
	s_or_b64 exec, exec, s[4:5]
	ds_read_b32 v25, v3
	s_waitcnt lgkmcnt(1)
	v_add_u32_e32 v34, -1, v27
	v_mov_b32_e32 v3, v26
.LBB11_19:                              ;   in Loop: Header=BB11_9 Depth=1
	s_or_b64 exec, exec, s[2:3]
	v_add_u32_e32 v26, 1, v2
	v_cmp_eq_u32_e32 vcc, v26, v34
	s_waitcnt lgkmcnt(0)
	v_mov_b32_e32 v26, v25
	s_and_saveexec_b64 s[2:3], vcc
	s_cbranch_execz .LBB11_25
; %bb.20:                               ;   in Loop: Header=BB11_9 Depth=1
	v_add_u32_e32 v27, 1, v3
	v_cmp_ne_u32_e32 vcc, s7, v27
                                        ; implicit-def: $vgpr28
	s_and_saveexec_b64 s[4:5], vcc
	s_xor_b64 s[4:5], exec, s[4:5]
	s_cbranch_execz .LBB11_22
; %bb.21:                               ;   in Loop: Header=BB11_9 Depth=1
	v_lshlrev_b32_e32 v3, 2, v3
	ds_read_b32 v28, v3 offset:1032
.LBB11_22:                              ;   in Loop: Header=BB11_9 Depth=1
	s_andn2_saveexec_b64 s[4:5], s[4:5]
	s_cbranch_execz .LBB11_24
; %bb.23:                               ;   in Loop: Header=BB11_9 Depth=1
	s_waitcnt lgkmcnt(0)
	v_add_u32_e32 v28, 15, v2
.LBB11_24:                              ;   in Loop: Header=BB11_9 Depth=1
	s_or_b64 exec, exec, s[4:5]
	v_lshlrev_b32_e32 v3, 2, v27
	ds_read_b32 v26, v3
	s_waitcnt lgkmcnt(1)
	v_add_u32_e32 v34, -1, v28
	v_mov_b32_e32 v3, v27
.LBB11_25:                              ;   in Loop: Header=BB11_9 Depth=1
	s_or_b64 exec, exec, s[2:3]
	v_add_u32_e32 v27, 2, v2
	v_cmp_eq_u32_e32 vcc, v27, v34
	s_waitcnt lgkmcnt(0)
	v_mov_b32_e32 v27, v26
	s_and_saveexec_b64 s[2:3], vcc
	s_cbranch_execz .LBB11_31
; %bb.26:                               ;   in Loop: Header=BB11_9 Depth=1
	v_add_u32_e32 v28, 1, v3
	v_cmp_ne_u32_e32 vcc, s7, v28
                                        ; implicit-def: $vgpr29
	s_and_saveexec_b64 s[4:5], vcc
	s_xor_b64 s[4:5], exec, s[4:5]
	s_cbranch_execz .LBB11_28
; %bb.27:                               ;   in Loop: Header=BB11_9 Depth=1
	v_lshlrev_b32_e32 v3, 2, v3
	ds_read_b32 v29, v3 offset:1032
.LBB11_28:                              ;   in Loop: Header=BB11_9 Depth=1
	s_andn2_saveexec_b64 s[4:5], s[4:5]
	s_cbranch_execz .LBB11_30
; %bb.29:                               ;   in Loop: Header=BB11_9 Depth=1
	s_waitcnt lgkmcnt(0)
	v_add_u32_e32 v29, 16, v2
.LBB11_30:                              ;   in Loop: Header=BB11_9 Depth=1
	s_or_b64 exec, exec, s[4:5]
	v_lshlrev_b32_e32 v3, 2, v28
	ds_read_b32 v27, v3
	s_waitcnt lgkmcnt(1)
	v_add_u32_e32 v34, -1, v29
	v_mov_b32_e32 v3, v28
.LBB11_31:                              ;   in Loop: Header=BB11_9 Depth=1
	s_or_b64 exec, exec, s[2:3]
	v_add_u32_e32 v28, 3, v2
	v_cmp_eq_u32_e32 vcc, v28, v34
	s_waitcnt lgkmcnt(0)
	v_mov_b32_e32 v28, v27
	s_and_saveexec_b64 s[2:3], vcc
	s_cbranch_execz .LBB11_37
; %bb.32:                               ;   in Loop: Header=BB11_9 Depth=1
	v_add_u32_e32 v29, 1, v3
	v_cmp_ne_u32_e32 vcc, s7, v29
                                        ; implicit-def: $vgpr30
	s_and_saveexec_b64 s[4:5], vcc
	s_xor_b64 s[4:5], exec, s[4:5]
	s_cbranch_execz .LBB11_34
; %bb.33:                               ;   in Loop: Header=BB11_9 Depth=1
	v_lshlrev_b32_e32 v3, 2, v3
	ds_read_b32 v30, v3 offset:1032
.LBB11_34:                              ;   in Loop: Header=BB11_9 Depth=1
	s_andn2_saveexec_b64 s[4:5], s[4:5]
	s_cbranch_execz .LBB11_36
; %bb.35:                               ;   in Loop: Header=BB11_9 Depth=1
	s_waitcnt lgkmcnt(0)
	v_add_u32_e32 v30, 17, v2
.LBB11_36:                              ;   in Loop: Header=BB11_9 Depth=1
	s_or_b64 exec, exec, s[4:5]
	v_lshlrev_b32_e32 v3, 2, v29
	ds_read_b32 v28, v3
	s_waitcnt lgkmcnt(1)
	v_add_u32_e32 v34, -1, v30
	v_mov_b32_e32 v3, v29
.LBB11_37:                              ;   in Loop: Header=BB11_9 Depth=1
	s_or_b64 exec, exec, s[2:3]
	v_add_u32_e32 v29, 4, v2
	v_cmp_eq_u32_e32 vcc, v29, v34
	s_waitcnt lgkmcnt(0)
	v_mov_b32_e32 v29, v28
	s_and_saveexec_b64 s[2:3], vcc
	s_cbranch_execz .LBB11_43
; %bb.38:                               ;   in Loop: Header=BB11_9 Depth=1
	v_add_u32_e32 v30, 1, v3
	v_cmp_ne_u32_e32 vcc, s7, v30
                                        ; implicit-def: $vgpr31
	s_and_saveexec_b64 s[4:5], vcc
	s_xor_b64 s[4:5], exec, s[4:5]
	s_cbranch_execz .LBB11_40
; %bb.39:                               ;   in Loop: Header=BB11_9 Depth=1
	v_lshlrev_b32_e32 v3, 2, v3
	ds_read_b32 v31, v3 offset:1032
.LBB11_40:                              ;   in Loop: Header=BB11_9 Depth=1
	s_andn2_saveexec_b64 s[4:5], s[4:5]
	s_cbranch_execz .LBB11_42
; %bb.41:                               ;   in Loop: Header=BB11_9 Depth=1
	s_waitcnt lgkmcnt(0)
	v_add_u32_e32 v31, 18, v2
.LBB11_42:                              ;   in Loop: Header=BB11_9 Depth=1
	s_or_b64 exec, exec, s[4:5]
	v_lshlrev_b32_e32 v3, 2, v30
	ds_read_b32 v29, v3
	s_waitcnt lgkmcnt(1)
	v_add_u32_e32 v34, -1, v31
	v_mov_b32_e32 v3, v30
.LBB11_43:                              ;   in Loop: Header=BB11_9 Depth=1
	s_or_b64 exec, exec, s[2:3]
	v_add_u32_e32 v30, 5, v2
	v_cmp_eq_u32_e32 vcc, v30, v34
	s_waitcnt lgkmcnt(0)
	v_mov_b32_e32 v30, v29
	s_and_saveexec_b64 s[2:3], vcc
	s_cbranch_execz .LBB11_49
; %bb.44:                               ;   in Loop: Header=BB11_9 Depth=1
	v_add_u32_e32 v31, 1, v3
	v_cmp_ne_u32_e32 vcc, s7, v31
                                        ; implicit-def: $vgpr32
	s_and_saveexec_b64 s[4:5], vcc
	s_xor_b64 s[4:5], exec, s[4:5]
	s_cbranch_execz .LBB11_46
; %bb.45:                               ;   in Loop: Header=BB11_9 Depth=1
	v_lshlrev_b32_e32 v3, 2, v3
	ds_read_b32 v32, v3 offset:1032
.LBB11_46:                              ;   in Loop: Header=BB11_9 Depth=1
	s_andn2_saveexec_b64 s[4:5], s[4:5]
	s_cbranch_execz .LBB11_48
; %bb.47:                               ;   in Loop: Header=BB11_9 Depth=1
	s_waitcnt lgkmcnt(0)
	v_add_u32_e32 v32, 19, v2
.LBB11_48:                              ;   in Loop: Header=BB11_9 Depth=1
	s_or_b64 exec, exec, s[4:5]
	v_lshlrev_b32_e32 v3, 2, v31
	ds_read_b32 v30, v3
	s_waitcnt lgkmcnt(1)
	v_add_u32_e32 v34, -1, v32
	v_mov_b32_e32 v3, v31
.LBB11_49:                              ;   in Loop: Header=BB11_9 Depth=1
	s_or_b64 exec, exec, s[2:3]
	v_add_u32_e32 v31, 6, v2
	v_cmp_eq_u32_e32 vcc, v31, v34
	s_waitcnt lgkmcnt(0)
	v_mov_b32_e32 v31, v30
	s_and_saveexec_b64 s[2:3], vcc
	s_cbranch_execz .LBB11_55
; %bb.50:                               ;   in Loop: Header=BB11_9 Depth=1
	v_add_u32_e32 v32, 1, v3
	v_cmp_ne_u32_e32 vcc, s7, v32
                                        ; implicit-def: $vgpr33
	s_and_saveexec_b64 s[4:5], vcc
	s_xor_b64 s[4:5], exec, s[4:5]
	s_cbranch_execz .LBB11_52
; %bb.51:                               ;   in Loop: Header=BB11_9 Depth=1
	v_lshlrev_b32_e32 v3, 2, v3
	ds_read_b32 v33, v3 offset:1032
.LBB11_52:                              ;   in Loop: Header=BB11_9 Depth=1
	s_andn2_saveexec_b64 s[4:5], s[4:5]
	s_cbranch_execz .LBB11_54
; %bb.53:                               ;   in Loop: Header=BB11_9 Depth=1
	s_waitcnt lgkmcnt(0)
	v_add_u32_e32 v33, 20, v2
.LBB11_54:                              ;   in Loop: Header=BB11_9 Depth=1
	s_or_b64 exec, exec, s[4:5]
	v_lshlrev_b32_e32 v3, 2, v32
	ds_read_b32 v31, v3
	s_waitcnt lgkmcnt(1)
	v_add_u32_e32 v34, -1, v33
	v_mov_b32_e32 v3, v32
.LBB11_55:                              ;   in Loop: Header=BB11_9 Depth=1
	s_or_b64 exec, exec, s[2:3]
	v_add_u32_e32 v32, 7, v2
	v_cmp_eq_u32_e32 vcc, v32, v34
	s_waitcnt lgkmcnt(0)
	v_mov_b32_e32 v32, v31
	s_and_saveexec_b64 s[2:3], vcc
	s_cbranch_execz .LBB11_61
; %bb.56:                               ;   in Loop: Header=BB11_9 Depth=1
	v_add_u32_e32 v33, 1, v3
	v_cmp_ne_u32_e32 vcc, s7, v33
                                        ; implicit-def: $vgpr34
	s_and_saveexec_b64 s[4:5], vcc
	s_xor_b64 s[4:5], exec, s[4:5]
	s_cbranch_execz .LBB11_58
; %bb.57:                               ;   in Loop: Header=BB11_9 Depth=1
	v_lshlrev_b32_e32 v3, 2, v3
	ds_read_b32 v34, v3 offset:1032
.LBB11_58:                              ;   in Loop: Header=BB11_9 Depth=1
	s_andn2_saveexec_b64 s[4:5], s[4:5]
	s_cbranch_execz .LBB11_60
; %bb.59:                               ;   in Loop: Header=BB11_9 Depth=1
	s_waitcnt lgkmcnt(0)
	v_add_u32_e32 v34, 21, v2
.LBB11_60:                              ;   in Loop: Header=BB11_9 Depth=1
	s_or_b64 exec, exec, s[4:5]
	v_lshlrev_b32_e32 v3, 2, v33
	ds_read_b32 v32, v3
	s_waitcnt lgkmcnt(1)
	v_add_u32_e32 v34, -1, v34
	v_mov_b32_e32 v3, v33
.LBB11_61:                              ;   in Loop: Header=BB11_9 Depth=1
	s_or_b64 exec, exec, s[2:3]
	v_add_u32_e32 v33, 8, v2
	v_cmp_eq_u32_e32 vcc, v33, v34
	s_waitcnt lgkmcnt(0)
	v_mov_b32_e32 v33, v32
	s_and_saveexec_b64 s[2:3], vcc
	s_cbranch_execz .LBB11_67
; %bb.62:                               ;   in Loop: Header=BB11_9 Depth=1
	v_add_u32_e32 v35, 1, v3
	v_cmp_ne_u32_e32 vcc, s7, v35
                                        ; implicit-def: $vgpr34
	s_and_saveexec_b64 s[4:5], vcc
	s_xor_b64 s[4:5], exec, s[4:5]
	s_cbranch_execz .LBB11_64
; %bb.63:                               ;   in Loop: Header=BB11_9 Depth=1
	v_lshlrev_b32_e32 v3, 2, v3
	ds_read_b32 v34, v3 offset:1032
.LBB11_64:                              ;   in Loop: Header=BB11_9 Depth=1
	s_andn2_saveexec_b64 s[4:5], s[4:5]
	s_cbranch_execz .LBB11_66
; %bb.65:                               ;   in Loop: Header=BB11_9 Depth=1
	s_waitcnt lgkmcnt(0)
	v_add_u32_e32 v34, 22, v2
.LBB11_66:                              ;   in Loop: Header=BB11_9 Depth=1
	s_or_b64 exec, exec, s[4:5]
	v_lshlrev_b32_e32 v3, 2, v35
	ds_read_b32 v33, v3
	s_waitcnt lgkmcnt(1)
	v_add_u32_e32 v34, -1, v34
	v_mov_b32_e32 v3, v35
.LBB11_67:                              ;   in Loop: Header=BB11_9 Depth=1
	;; [unrolled: 31-line block ×5, first 2 shown]
	s_or_b64 exec, exec, s[2:3]
	v_add_u32_e32 v2, 12, v2
	v_cmp_eq_u32_e32 vcc, v2, v34
	s_waitcnt lgkmcnt(0)
	v_mov_b32_e32 v34, v37
	s_and_saveexec_b64 s[2:3], vcc
	s_cbranch_execz .LBB11_87
; %bb.86:                               ;   in Loop: Header=BB11_9 Depth=1
	v_lshlrev_b32_e32 v2, 2, v3
	ds_read_b32 v34, v2 offset:4
.LBB11_87:                              ;   in Loop: Header=BB11_9 Depth=1
	s_or_b64 exec, exec, s[2:3]
	s_lshl_b64 s[2:3], s[0:1], 2
	v_mov_b32_e32 v3, s3
	v_add_co_u32_e32 v2, vcc, s2, v1
	s_min_u32 s4, s8, 0xe00
	v_addc_co_u32_e32 v3, vcc, v6, v3, vcc
	v_cmp_gt_u32_e32 vcc, s4, v0
	s_and_saveexec_b64 s[2:3], vcc
	s_cbranch_execnz .LBB11_101
; %bb.88:                               ;   in Loop: Header=BB11_9 Depth=1
	s_or_b64 exec, exec, s[2:3]
	v_cmp_gt_u32_e32 vcc, s4, v7
	s_and_saveexec_b64 s[2:3], vcc
	s_cbranch_execnz .LBB11_102
.LBB11_89:                              ;   in Loop: Header=BB11_9 Depth=1
	s_or_b64 exec, exec, s[2:3]
	v_cmp_gt_u32_e32 vcc, s4, v8
	s_and_saveexec_b64 s[2:3], vcc
	s_cbranch_execnz .LBB11_103
.LBB11_90:                              ;   in Loop: Header=BB11_9 Depth=1
	s_or_b64 exec, exec, s[2:3]
	v_cmp_gt_u32_e32 vcc, s4, v9
	s_and_saveexec_b64 s[2:3], vcc
	s_cbranch_execnz .LBB11_104
.LBB11_91:                              ;   in Loop: Header=BB11_9 Depth=1
	s_or_b64 exec, exec, s[2:3]
	v_cmp_gt_u32_e32 vcc, s4, v10
	s_and_saveexec_b64 s[2:3], vcc
	s_cbranch_execnz .LBB11_105
.LBB11_92:                              ;   in Loop: Header=BB11_9 Depth=1
	s_or_b64 exec, exec, s[2:3]
	v_cmp_gt_u32_e32 vcc, s4, v11
	s_and_saveexec_b64 s[2:3], vcc
	s_cbranch_execnz .LBB11_106
.LBB11_93:                              ;   in Loop: Header=BB11_9 Depth=1
	s_or_b64 exec, exec, s[2:3]
	v_cmp_gt_u32_e32 vcc, s4, v12
	s_and_saveexec_b64 s[2:3], vcc
	s_cbranch_execnz .LBB11_107
.LBB11_94:                              ;   in Loop: Header=BB11_9 Depth=1
	s_or_b64 exec, exec, s[2:3]
	v_cmp_gt_u32_e32 vcc, s4, v13
	s_and_saveexec_b64 s[2:3], vcc
	s_cbranch_execnz .LBB11_108
.LBB11_95:                              ;   in Loop: Header=BB11_9 Depth=1
	s_or_b64 exec, exec, s[2:3]
	v_cmp_gt_u32_e32 vcc, s4, v14
	s_and_saveexec_b64 s[2:3], vcc
	s_cbranch_execnz .LBB11_109
.LBB11_96:                              ;   in Loop: Header=BB11_9 Depth=1
	s_or_b64 exec, exec, s[2:3]
	v_cmp_gt_u32_e32 vcc, s4, v15
	s_and_saveexec_b64 s[2:3], vcc
	s_cbranch_execnz .LBB11_110
.LBB11_97:                              ;   in Loop: Header=BB11_9 Depth=1
	s_or_b64 exec, exec, s[2:3]
	v_cmp_gt_u32_e32 vcc, s4, v16
	s_and_saveexec_b64 s[2:3], vcc
	s_cbranch_execnz .LBB11_111
.LBB11_98:                              ;   in Loop: Header=BB11_9 Depth=1
	s_or_b64 exec, exec, s[2:3]
	v_cmp_gt_u32_e32 vcc, s4, v17
	s_and_saveexec_b64 s[2:3], vcc
	s_cbranch_execnz .LBB11_112
.LBB11_99:                              ;   in Loop: Header=BB11_9 Depth=1
	s_or_b64 exec, exec, s[2:3]
	v_cmp_gt_u32_e32 vcc, s4, v18
	s_and_saveexec_b64 s[2:3], vcc
	s_cbranch_execnz .LBB11_113
.LBB11_100:                             ;   in Loop: Header=BB11_9 Depth=1
	s_or_b64 exec, exec, s[2:3]
	v_cmp_gt_u32_e32 vcc, s4, v19
	s_and_saveexec_b64 s[2:3], vcc
	s_cbranch_execz .LBB11_8
	s_branch .LBB11_114
.LBB11_101:                             ;   in Loop: Header=BB11_9 Depth=1
	global_store_dword v[2:3], v24, off
	s_or_b64 exec, exec, s[2:3]
	v_cmp_gt_u32_e32 vcc, s4, v7
	s_and_saveexec_b64 s[2:3], vcc
	s_cbranch_execz .LBB11_89
.LBB11_102:                             ;   in Loop: Header=BB11_9 Depth=1
	global_store_dword v[2:3], v25, off offset:4
	s_or_b64 exec, exec, s[2:3]
	v_cmp_gt_u32_e32 vcc, s4, v8
	s_and_saveexec_b64 s[2:3], vcc
	s_cbranch_execz .LBB11_90
.LBB11_103:                             ;   in Loop: Header=BB11_9 Depth=1
	global_store_dword v[2:3], v26, off offset:8
	s_or_b64 exec, exec, s[2:3]
	v_cmp_gt_u32_e32 vcc, s4, v9
	s_and_saveexec_b64 s[2:3], vcc
	s_cbranch_execz .LBB11_91
.LBB11_104:                             ;   in Loop: Header=BB11_9 Depth=1
	global_store_dword v[2:3], v27, off offset:12
	s_or_b64 exec, exec, s[2:3]
	v_cmp_gt_u32_e32 vcc, s4, v10
	s_and_saveexec_b64 s[2:3], vcc
	s_cbranch_execz .LBB11_92
.LBB11_105:                             ;   in Loop: Header=BB11_9 Depth=1
	global_store_dword v[2:3], v28, off offset:16
	s_or_b64 exec, exec, s[2:3]
	v_cmp_gt_u32_e32 vcc, s4, v11
	s_and_saveexec_b64 s[2:3], vcc
	s_cbranch_execz .LBB11_93
.LBB11_106:                             ;   in Loop: Header=BB11_9 Depth=1
	global_store_dword v[2:3], v29, off offset:20
	s_or_b64 exec, exec, s[2:3]
	v_cmp_gt_u32_e32 vcc, s4, v12
	s_and_saveexec_b64 s[2:3], vcc
	s_cbranch_execz .LBB11_94
.LBB11_107:                             ;   in Loop: Header=BB11_9 Depth=1
	global_store_dword v[2:3], v30, off offset:24
	s_or_b64 exec, exec, s[2:3]
	v_cmp_gt_u32_e32 vcc, s4, v13
	s_and_saveexec_b64 s[2:3], vcc
	s_cbranch_execz .LBB11_95
.LBB11_108:                             ;   in Loop: Header=BB11_9 Depth=1
	global_store_dword v[2:3], v31, off offset:28
	s_or_b64 exec, exec, s[2:3]
	v_cmp_gt_u32_e32 vcc, s4, v14
	s_and_saveexec_b64 s[2:3], vcc
	s_cbranch_execz .LBB11_96
.LBB11_109:                             ;   in Loop: Header=BB11_9 Depth=1
	global_store_dword v[2:3], v32, off offset:32
	s_or_b64 exec, exec, s[2:3]
	v_cmp_gt_u32_e32 vcc, s4, v15
	s_and_saveexec_b64 s[2:3], vcc
	s_cbranch_execz .LBB11_97
.LBB11_110:                             ;   in Loop: Header=BB11_9 Depth=1
	global_store_dword v[2:3], v33, off offset:36
	s_or_b64 exec, exec, s[2:3]
	v_cmp_gt_u32_e32 vcc, s4, v16
	s_and_saveexec_b64 s[2:3], vcc
	s_cbranch_execz .LBB11_98
.LBB11_111:                             ;   in Loop: Header=BB11_9 Depth=1
	global_store_dword v[2:3], v35, off offset:40
	s_or_b64 exec, exec, s[2:3]
	v_cmp_gt_u32_e32 vcc, s4, v17
	s_and_saveexec_b64 s[2:3], vcc
	s_cbranch_execz .LBB11_99
.LBB11_112:                             ;   in Loop: Header=BB11_9 Depth=1
	global_store_dword v[2:3], v36, off offset:44
	s_or_b64 exec, exec, s[2:3]
	v_cmp_gt_u32_e32 vcc, s4, v18
	s_and_saveexec_b64 s[2:3], vcc
	s_cbranch_execz .LBB11_100
.LBB11_113:                             ;   in Loop: Header=BB11_9 Depth=1
	global_store_dword v[2:3], v37, off offset:48
	s_or_b64 exec, exec, s[2:3]
	v_cmp_gt_u32_e32 vcc, s4, v19
	s_and_saveexec_b64 s[2:3], vcc
	s_cbranch_execz .LBB11_8
.LBB11_114:                             ;   in Loop: Header=BB11_9 Depth=1
	s_waitcnt lgkmcnt(0)
	global_store_dword v[2:3], v34, off offset:52
	s_branch .LBB11_8
.LBB11_115:
	s_endpgm
	.section	.rodata,"a",@progbits
	.p2align	6, 0x0
	.amdhsa_kernel _Z30block_run_length_decode_kernelIiiLj256ELj1ELj14EEvPKT_PKT0_PS0_
		.amdhsa_group_segment_fixed_size 2048
		.amdhsa_private_segment_fixed_size 0
		.amdhsa_kernarg_size 24
		.amdhsa_user_sgpr_count 6
		.amdhsa_user_sgpr_private_segment_buffer 1
		.amdhsa_user_sgpr_dispatch_ptr 0
		.amdhsa_user_sgpr_queue_ptr 0
		.amdhsa_user_sgpr_kernarg_segment_ptr 1
		.amdhsa_user_sgpr_dispatch_id 0
		.amdhsa_user_sgpr_flat_scratch_init 0
		.amdhsa_user_sgpr_kernarg_preload_length 0
		.amdhsa_user_sgpr_kernarg_preload_offset 0
		.amdhsa_user_sgpr_private_segment_size 0
		.amdhsa_uses_dynamic_stack 0
		.amdhsa_system_sgpr_private_segment_wavefront_offset 0
		.amdhsa_system_sgpr_workgroup_id_x 1
		.amdhsa_system_sgpr_workgroup_id_y 0
		.amdhsa_system_sgpr_workgroup_id_z 0
		.amdhsa_system_sgpr_workgroup_info 0
		.amdhsa_system_vgpr_workitem_id 0
		.amdhsa_next_free_vgpr 39
		.amdhsa_next_free_sgpr 9
		.amdhsa_accum_offset 40
		.amdhsa_reserve_vcc 1
		.amdhsa_reserve_flat_scratch 0
		.amdhsa_float_round_mode_32 0
		.amdhsa_float_round_mode_16_64 0
		.amdhsa_float_denorm_mode_32 3
		.amdhsa_float_denorm_mode_16_64 3
		.amdhsa_dx10_clamp 1
		.amdhsa_ieee_mode 1
		.amdhsa_fp16_overflow 0
		.amdhsa_tg_split 0
		.amdhsa_exception_fp_ieee_invalid_op 0
		.amdhsa_exception_fp_denorm_src 0
		.amdhsa_exception_fp_ieee_div_zero 0
		.amdhsa_exception_fp_ieee_overflow 0
		.amdhsa_exception_fp_ieee_underflow 0
		.amdhsa_exception_fp_ieee_inexact 0
		.amdhsa_exception_int_div_zero 0
	.end_amdhsa_kernel
	.section	.text._Z30block_run_length_decode_kernelIiiLj256ELj1ELj14EEvPKT_PKT0_PS0_,"axG",@progbits,_Z30block_run_length_decode_kernelIiiLj256ELj1ELj14EEvPKT_PKT0_PS0_,comdat
.Lfunc_end11:
	.size	_Z30block_run_length_decode_kernelIiiLj256ELj1ELj14EEvPKT_PKT0_PS0_, .Lfunc_end11-_Z30block_run_length_decode_kernelIiiLj256ELj1ELj14EEvPKT_PKT0_PS0_
                                        ; -- End function
	.section	.AMDGPU.csdata,"",@progbits
; Kernel info:
; codeLenInByte = 3128
; NumSgprs: 13
; NumVgprs: 39
; NumAgprs: 0
; TotalNumVgprs: 39
; ScratchSize: 0
; MemoryBound: 0
; FloatMode: 240
; IeeeMode: 1
; LDSByteSize: 2048 bytes/workgroup (compile time only)
; SGPRBlocks: 1
; VGPRBlocks: 4
; NumSGPRsForWavesPerEU: 13
; NumVGPRsForWavesPerEU: 39
; AccumOffset: 40
; Occupancy: 8
; WaveLimiterHint : 0
; COMPUTE_PGM_RSRC2:SCRATCH_EN: 0
; COMPUTE_PGM_RSRC2:USER_SGPR: 6
; COMPUTE_PGM_RSRC2:TRAP_HANDLER: 0
; COMPUTE_PGM_RSRC2:TGID_X_EN: 1
; COMPUTE_PGM_RSRC2:TGID_Y_EN: 0
; COMPUTE_PGM_RSRC2:TGID_Z_EN: 0
; COMPUTE_PGM_RSRC2:TIDIG_COMP_CNT: 0
; COMPUTE_PGM_RSRC3_GFX90A:ACCUM_OFFSET: 9
; COMPUTE_PGM_RSRC3_GFX90A:TG_SPLIT: 0
	.section	.text._Z30block_run_length_decode_kernelI12hip_bfloat16iLj256ELj8ELj8EEvPKT_PKT0_PS1_,"axG",@progbits,_Z30block_run_length_decode_kernelI12hip_bfloat16iLj256ELj8ELj8EEvPKT_PKT0_PS1_,comdat
	.protected	_Z30block_run_length_decode_kernelI12hip_bfloat16iLj256ELj8ELj8EEvPKT_PKT0_PS1_ ; -- Begin function _Z30block_run_length_decode_kernelI12hip_bfloat16iLj256ELj8ELj8EEvPKT_PKT0_PS1_
	.globl	_Z30block_run_length_decode_kernelI12hip_bfloat16iLj256ELj8ELj8EEvPKT_PKT0_PS1_
	.p2align	8
	.type	_Z30block_run_length_decode_kernelI12hip_bfloat16iLj256ELj8ELj8EEvPKT_PKT0_PS1_,@function
_Z30block_run_length_decode_kernelI12hip_bfloat16iLj256ELj8ELj8EEvPKT_PKT0_PS1_: ; @_Z30block_run_length_decode_kernelI12hip_bfloat16iLj256ELj8ELj8EEvPKT_PKT0_PS1_
; %bb.0:
	s_load_dwordx4 s[0:3], s[4:5], 0x0
	v_lshlrev_b32_e32 v18, 3, v0
	v_lshl_or_b32 v14, s6, 11, v18
	v_mov_b32_e32 v15, 0
	v_lshlrev_b64 v[2:3], 2, v[14:15]
	s_waitcnt lgkmcnt(0)
	v_mov_b32_e32 v1, s3
	v_add_co_u32_e32 v2, vcc, s2, v2
	v_addc_co_u32_e32 v3, vcc, v1, v3, vcc
	global_load_dwordx4 v[10:13], v[2:3], off
	global_load_dwordx4 v[6:9], v[2:3], off offset:16
	v_lshlrev_b64 v[16:17], 1, v[14:15]
	v_mov_b32_e32 v1, s1
	v_add_co_u32_e32 v2, vcc, s0, v16
	v_addc_co_u32_e32 v3, vcc, v1, v17, vcc
	global_load_dwordx4 v[2:5], v[2:3], off
	v_mbcnt_lo_u32_b32 v1, -1, 0
	v_mbcnt_hi_u32_b32 v1, -1, v1
	v_and_b32_e32 v20, 15, v1
	v_cmp_ne_u32_e32 vcc, 0, v20
	v_bfe_i32 v21, v1, 4, 1
	v_or_b32_e32 v19, 63, v0
	v_lshrrev_b32_e32 v15, 6, v0
	s_waitcnt vmcnt(2)
	v_add_u32_e32 v22, v11, v10
	v_add3_u32 v22, v22, v12, v13
	s_waitcnt vmcnt(1)
	v_add3_u32 v22, v22, v6, v7
	v_add3_u32 v9, v22, v8, v9
	s_nop 1
	v_mov_b32_dpp v22, v9 row_shr:1 row_mask:0xf bank_mask:0xf
	v_cndmask_b32_e32 v22, 0, v22, vcc
	v_add_u32_e32 v9, v22, v9
	v_cmp_lt_u32_e32 vcc, 1, v20
	s_nop 0
	v_mov_b32_dpp v22, v9 row_shr:2 row_mask:0xf bank_mask:0xf
	v_cndmask_b32_e32 v22, 0, v22, vcc
	v_add_u32_e32 v9, v9, v22
	v_cmp_lt_u32_e32 vcc, 3, v20
	;; [unrolled: 5-line block ×4, first 2 shown]
	s_nop 0
	v_mov_b32_dpp v20, v9 row_bcast:15 row_mask:0xf bank_mask:0xf
	v_and_b32_e32 v20, v21, v20
	v_add_u32_e32 v9, v9, v20
	s_nop 1
	v_mov_b32_dpp v20, v9 row_bcast:31 row_mask:0xf bank_mask:0xf
	v_cndmask_b32_e32 v20, 0, v20, vcc
	v_add_u32_e32 v9, v9, v20
	v_cmp_eq_u32_e32 vcc, v19, v0
	s_and_saveexec_b64 s[0:1], vcc
	s_cbranch_execz .LBB12_2
; %bb.1:
	v_lshlrev_b32_e32 v19, 2, v15
	ds_write_b32 v19, v9
.LBB12_2:
	s_or_b64 exec, exec, s[0:1]
	v_cmp_gt_u32_e32 vcc, 4, v0
	s_waitcnt lgkmcnt(0)
	s_barrier
	s_and_saveexec_b64 s[0:1], vcc
	s_cbranch_execz .LBB12_4
; %bb.3:
	v_lshlrev_b32_e32 v19, 2, v0
	ds_read_b32 v20, v19
	v_and_b32_e32 v21, 3, v1
	v_cmp_ne_u32_e32 vcc, 0, v21
	s_waitcnt lgkmcnt(0)
	v_mov_b32_dpp v22, v20 row_shr:1 row_mask:0xf bank_mask:0xf
	v_cndmask_b32_e32 v22, 0, v22, vcc
	v_add_u32_e32 v20, v22, v20
	v_cmp_lt_u32_e32 vcc, 1, v21
	s_nop 0
	v_mov_b32_dpp v22, v20 row_shr:2 row_mask:0xf bank_mask:0xf
	v_cndmask_b32_e32 v21, 0, v22, vcc
	v_add_u32_e32 v20, v20, v21
	ds_write_b32 v19, v20
.LBB12_4:
	s_or_b64 exec, exec, s[0:1]
	v_cmp_lt_u32_e32 vcc, 63, v0
	v_mov_b32_e32 v19, 0
	v_mov_b32_e32 v20, 0
	s_waitcnt lgkmcnt(0)
	s_barrier
	s_and_saveexec_b64 s[0:1], vcc
	s_cbranch_execz .LBB12_6
; %bb.5:
	v_lshl_add_u32 v15, v15, 2, -4
	ds_read_b32 v20, v15
.LBB12_6:
	s_or_b64 exec, exec, s[0:1]
	v_add_u32_e32 v15, -1, v1
	v_and_b32_e32 v21, 64, v1
	v_cmp_lt_i32_e32 vcc, v15, v21
	v_cndmask_b32_e32 v15, v15, v1, vcc
	s_waitcnt lgkmcnt(0)
	v_add_u32_e32 v9, v20, v9
	v_lshlrev_b32_e32 v15, 2, v15
	ds_bpermute_b32 v9, v15, v9
	v_cmp_eq_u32_e32 vcc, 0, v1
	v_lshlrev_b32_e32 v15, 2, v18
	s_mov_b32 s6, 0
	s_waitcnt lgkmcnt(0)
	v_cndmask_b32_e32 v1, v9, v20, vcc
	v_cmp_ne_u32_e32 vcc, 0, v0
	v_cndmask_b32_e32 v0, 0, v1, vcc
	v_add_u32_e32 v1, v0, v10
	v_add_u32_e32 v9, v1, v11
	ds_read_b32 v11, v19 offset:12
	v_add_u32_e32 v10, v9, v12
	v_add_u32_e32 v12, v10, v13
	;; [unrolled: 1-line block ×4, first 2 shown]
	s_waitcnt lgkmcnt(0)
	s_barrier
	ds_write2_b32 v19, v0, v1 offset1:1
	v_add_u32_e32 v0, 0x1008, v15
	v_cmp_eq_u32_e32 vcc, 0, v11
	v_add_u32_e32 v7, v6, v7
	v_readfirstlane_b32 s7, v11
	v_lshlrev_b32_e32 v13, 1, v18
	ds_write2_b32 v0, v9, v10 offset1:1
	v_add_u32_e32 v0, 0x1010, v15
	s_and_b64 vcc, exec, vcc
	v_add_u32_e32 v8, v7, v8
	ds_write2_b32 v0, v12, v6 offset1:1
	v_add_u32_e32 v0, 0x1018, v15
	s_waitcnt vmcnt(0)
	ds_write_b128 v13, v[2:5]
	ds_write2_b32 v0, v7, v8 offset1:1
	s_waitcnt lgkmcnt(0)
	s_barrier
	s_cbranch_vccnz .LBB12_67
; %bb.7:
	s_load_dwordx2 s[0:1], s[4:5], 0x10
	v_mov_b32_e32 v0, 0
	ds_read_b32 v2, v0 offset:8192
	v_or_b32_e32 v3, 1, v14
	v_or_b32_e32 v4, 2, v14
	s_waitcnt lgkmcnt(0)
	v_mov_b32_e32 v0, s1
	v_add_co_u32_e32 v1, vcc, s0, v16
	v_addc_co_u32_e32 v10, vcc, v17, v0, vcc
	v_add_co_u32_e32 v0, vcc, 14, v1
	v_or_b32_e32 v5, 3, v14
	v_or_b32_e32 v6, 4, v14
	;; [unrolled: 1-line block ×5, first 2 shown]
	v_addc_co_u32_e32 v1, vcc, 0, v10, vcc
	v_mov_b32_e32 v10, 0x401
	v_mov_b32_e32 v11, 0x800
	;; [unrolled: 1-line block ×5, first 2 shown]
	s_movk_i32 s4, 0x7ff
	s_mov_b32 s5, s7
	s_branch .LBB12_9
.LBB12_8:                               ;   in Loop: Header=BB12_9 Depth=1
	s_or_b64 exec, exec, s[0:1]
	s_addk_i32 s6, 0x800
	s_addk_i32 s5, 0xf800
	v_add_co_u32_e32 v0, vcc, 0x1000, v0
	s_cmp_lt_u32 s6, s7
	v_addc_co_u32_e32 v1, vcc, 0, v1, vcc
	s_cbranch_scc0 .LBB12_67
.LBB12_9:                               ; =>This Inner Loop Header: Depth=1
	s_waitcnt lgkmcnt(0)
	v_add_u32_e32 v16, s6, v18
	v_cmp_gt_u32_e32 vcc, v2, v16
	v_cndmask_b32_e32 v19, v13, v15, vcc
	v_lshlrev_b32_e32 v20, 2, v19
	ds_read_b32 v20, v20 offset:4096
	v_cndmask_b32_e64 v17, v10, 0, vcc
	v_cndmask_b32_e32 v21, v11, v12, vcc
	v_or_b32_e32 v22, 1, v19
	s_waitcnt lgkmcnt(0)
	v_cmp_gt_u32_e32 vcc, v20, v16
	v_cndmask_b32_e32 v17, v22, v17, vcc
	v_cndmask_b32_e32 v19, v21, v19, vcc
	v_sub_u32_e32 v20, v19, v17
	v_lshrrev_b16_e32 v21, 15, v20
	v_add_u16_e32 v20, v20, v21
	v_ashrrev_i16_e32 v20, 1, v20
	v_add_u32_sdwa v20, v17, sext(v20) dst_sel:DWORD dst_unused:UNUSED_PAD src0_sel:DWORD src1_sel:WORD_0
	v_min_i32_e32 v20, 0x7ff, v20
	v_lshlrev_b32_e32 v21, 2, v20
	ds_read_b32 v21, v21 offset:4096
	v_add_u32_e32 v22, 1, v20
	s_waitcnt lgkmcnt(0)
	v_cmp_gt_u32_e32 vcc, v21, v16
	v_cndmask_b32_e32 v17, v22, v17, vcc
	v_cndmask_b32_e32 v19, v19, v20, vcc
	v_sub_u32_e32 v20, v19, v17
	v_lshrrev_b16_e32 v21, 15, v20
	v_add_u16_e32 v20, v20, v21
	v_ashrrev_i16_e32 v20, 1, v20
	v_add_u32_sdwa v20, v17, sext(v20) dst_sel:DWORD dst_unused:UNUSED_PAD src0_sel:DWORD src1_sel:WORD_0
	v_min_i32_e32 v20, 0x7ff, v20
	v_lshlrev_b32_e32 v21, 2, v20
	ds_read_b32 v21, v21 offset:4096
	v_add_u32_e32 v22, 1, v20
	;; [unrolled: 13-line block ×8, first 2 shown]
	s_waitcnt lgkmcnt(0)
	v_cmp_gt_u32_e32 vcc, v21, v16
	v_cndmask_b32_e32 v17, v22, v17, vcc
	v_cndmask_b32_e32 v19, v19, v20, vcc
	v_sub_u32_e32 v20, v19, v17
	v_lshrrev_b32_e32 v21, 31, v20
	v_add_u32_e32 v20, v20, v21
	v_ashrrev_i32_e32 v20, 1, v20
	v_add_u32_e32 v20, v20, v17
	v_min_i32_e32 v20, 0x7ff, v20
	v_lshlrev_b32_e32 v21, 2, v20
	ds_read_b32 v21, v21 offset:4096
	v_add_u32_e32 v22, 1, v20
	s_waitcnt lgkmcnt(0)
	v_cmp_gt_u32_e32 vcc, v21, v16
	v_cndmask_b32_e32 v17, v22, v17, vcc
	v_cndmask_b32_e32 v19, v19, v20, vcc
	v_sub_u32_e32 v19, v19, v17
	v_lshrrev_b32_e32 v20, 31, v19
	v_add_u32_e32 v19, v19, v20
	v_ashrrev_i32_e32 v19, 1, v19
	v_add_u32_e32 v19, v19, v17
	v_min_i32_e32 v19, 0x7ff, v19
	v_lshlrev_b32_e32 v20, 2, v19
	ds_read_b32 v20, v20 offset:4096
	v_add_u32_e32 v19, 1, v19
	s_waitcnt lgkmcnt(0)
	v_cmp_gt_u32_e32 vcc, v20, v16
	v_cndmask_b32_e32 v20, v19, v17, vcc
	v_add_u32_e32 v22, -1, v20
	v_cmp_ne_u32_e32 vcc, s4, v22
                                        ; implicit-def: $vgpr19
	s_and_saveexec_b64 s[0:1], vcc
	s_xor_b64 s[0:1], exec, s[0:1]
	s_cbranch_execz .LBB12_11
; %bb.10:                               ;   in Loop: Header=BB12_9 Depth=1
	v_lshlrev_b32_e32 v17, 2, v20
	ds_read_b32 v19, v17 offset:4096
.LBB12_11:                              ;   in Loop: Header=BB12_9 Depth=1
	s_andn2_saveexec_b64 s[0:1], s[0:1]
	s_cbranch_execz .LBB12_13
; %bb.12:                               ;   in Loop: Header=BB12_9 Depth=1
	s_waitcnt lgkmcnt(0)
	v_add_u32_e32 v19, 8, v16
.LBB12_13:                              ;   in Loop: Header=BB12_9 Depth=1
	s_or_b64 exec, exec, s[0:1]
	v_lshlrev_b32_e32 v17, 1, v22
	ds_read_u16 v17, v17
	s_waitcnt lgkmcnt(1)
	v_add_u32_e32 v25, -1, v19
	v_cmp_eq_u32_e32 vcc, v16, v25
	s_waitcnt lgkmcnt(0)
	v_mov_b32_e32 v19, v17
	s_and_saveexec_b64 s[0:1], vcc
	s_cbranch_execz .LBB12_19
; %bb.14:                               ;   in Loop: Header=BB12_9 Depth=1
	v_cmp_ne_u32_e32 vcc, s4, v20
                                        ; implicit-def: $vgpr21
	s_and_saveexec_b64 s[2:3], vcc
	s_xor_b64 s[2:3], exec, s[2:3]
	s_cbranch_execz .LBB12_16
; %bb.15:                               ;   in Loop: Header=BB12_9 Depth=1
	v_lshlrev_b32_e32 v19, 2, v20
	ds_read_b32 v21, v19 offset:4100
.LBB12_16:                              ;   in Loop: Header=BB12_9 Depth=1
	s_andn2_saveexec_b64 s[2:3], s[2:3]
	s_cbranch_execz .LBB12_18
; %bb.17:                               ;   in Loop: Header=BB12_9 Depth=1
	s_waitcnt lgkmcnt(0)
	v_add_u32_e32 v21, 8, v16
.LBB12_18:                              ;   in Loop: Header=BB12_9 Depth=1
	s_or_b64 exec, exec, s[2:3]
	v_lshlrev_b32_e32 v19, 1, v20
	ds_read_u16 v19, v19
	s_waitcnt lgkmcnt(1)
	v_add_u32_e32 v25, -1, v21
	v_mov_b32_e32 v22, v20
.LBB12_19:                              ;   in Loop: Header=BB12_9 Depth=1
	s_or_b64 exec, exec, s[0:1]
	v_add_u32_e32 v20, 1, v16
	v_cmp_eq_u32_e32 vcc, v20, v25
	s_waitcnt lgkmcnt(0)
	v_mov_b32_e32 v20, v19
	s_and_saveexec_b64 s[0:1], vcc
	s_cbranch_execz .LBB12_25
; %bb.20:                               ;   in Loop: Header=BB12_9 Depth=1
	v_add_u32_e32 v21, 1, v22
	v_cmp_ne_u32_e32 vcc, s4, v21
                                        ; implicit-def: $vgpr23
	s_and_saveexec_b64 s[2:3], vcc
	s_xor_b64 s[2:3], exec, s[2:3]
	s_cbranch_execz .LBB12_22
; %bb.21:                               ;   in Loop: Header=BB12_9 Depth=1
	v_lshlrev_b32_e32 v20, 2, v22
	ds_read_b32 v23, v20 offset:4104
.LBB12_22:                              ;   in Loop: Header=BB12_9 Depth=1
	s_andn2_saveexec_b64 s[2:3], s[2:3]
	s_cbranch_execz .LBB12_24
; %bb.23:                               ;   in Loop: Header=BB12_9 Depth=1
	s_waitcnt lgkmcnt(0)
	v_add_u32_e32 v23, 9, v16
.LBB12_24:                              ;   in Loop: Header=BB12_9 Depth=1
	s_or_b64 exec, exec, s[2:3]
	v_lshlrev_b32_e32 v20, 1, v21
	ds_read_u16 v20, v20
	s_waitcnt lgkmcnt(1)
	v_add_u32_e32 v25, -1, v23
	v_mov_b32_e32 v22, v21
.LBB12_25:                              ;   in Loop: Header=BB12_9 Depth=1
	s_or_b64 exec, exec, s[0:1]
	v_add_u32_e32 v21, 2, v16
	v_cmp_eq_u32_e32 vcc, v21, v25
	s_waitcnt lgkmcnt(0)
	v_mov_b32_e32 v21, v20
	s_and_saveexec_b64 s[0:1], vcc
	s_cbranch_execz .LBB12_31
; %bb.26:                               ;   in Loop: Header=BB12_9 Depth=1
	v_add_u32_e32 v23, 1, v22
	v_cmp_ne_u32_e32 vcc, s4, v23
                                        ; implicit-def: $vgpr24
	s_and_saveexec_b64 s[2:3], vcc
	s_xor_b64 s[2:3], exec, s[2:3]
	s_cbranch_execz .LBB12_28
; %bb.27:                               ;   in Loop: Header=BB12_9 Depth=1
	v_lshlrev_b32_e32 v21, 2, v22
	ds_read_b32 v24, v21 offset:4104
.LBB12_28:                              ;   in Loop: Header=BB12_9 Depth=1
	s_andn2_saveexec_b64 s[2:3], s[2:3]
	s_cbranch_execz .LBB12_30
; %bb.29:                               ;   in Loop: Header=BB12_9 Depth=1
	s_waitcnt lgkmcnt(0)
	v_add_u32_e32 v24, 10, v16
.LBB12_30:                              ;   in Loop: Header=BB12_9 Depth=1
	s_or_b64 exec, exec, s[2:3]
	v_lshlrev_b32_e32 v21, 1, v23
	ds_read_u16 v21, v21
	s_waitcnt lgkmcnt(1)
	v_add_u32_e32 v25, -1, v24
	v_mov_b32_e32 v22, v23
.LBB12_31:                              ;   in Loop: Header=BB12_9 Depth=1
	s_or_b64 exec, exec, s[0:1]
	v_add_u32_e32 v23, 3, v16
	v_cmp_eq_u32_e32 vcc, v23, v25
	s_waitcnt lgkmcnt(0)
	v_mov_b32_e32 v23, v21
	s_and_saveexec_b64 s[0:1], vcc
	s_cbranch_execz .LBB12_37
; %bb.32:                               ;   in Loop: Header=BB12_9 Depth=1
	v_add_u32_e32 v24, 1, v22
	v_cmp_ne_u32_e32 vcc, s4, v24
                                        ; implicit-def: $vgpr25
	s_and_saveexec_b64 s[2:3], vcc
	s_xor_b64 s[2:3], exec, s[2:3]
	s_cbranch_execz .LBB12_34
; %bb.33:                               ;   in Loop: Header=BB12_9 Depth=1
	v_lshlrev_b32_e32 v22, 2, v22
	ds_read_b32 v25, v22 offset:4104
.LBB12_34:                              ;   in Loop: Header=BB12_9 Depth=1
	s_andn2_saveexec_b64 s[2:3], s[2:3]
	s_cbranch_execz .LBB12_36
; %bb.35:                               ;   in Loop: Header=BB12_9 Depth=1
	s_waitcnt lgkmcnt(0)
	v_add_u32_e32 v25, 11, v16
.LBB12_36:                              ;   in Loop: Header=BB12_9 Depth=1
	s_or_b64 exec, exec, s[2:3]
	v_lshlrev_b32_e32 v22, 1, v24
	ds_read_u16 v23, v22
	s_waitcnt lgkmcnt(1)
	v_add_u32_e32 v25, -1, v25
	v_mov_b32_e32 v22, v24
.LBB12_37:                              ;   in Loop: Header=BB12_9 Depth=1
	s_or_b64 exec, exec, s[0:1]
	v_add_u32_e32 v24, 4, v16
	v_cmp_eq_u32_e32 vcc, v24, v25
	s_waitcnt lgkmcnt(0)
	v_mov_b32_e32 v24, v23
	s_and_saveexec_b64 s[0:1], vcc
	s_cbranch_execz .LBB12_43
; %bb.38:                               ;   in Loop: Header=BB12_9 Depth=1
	v_add_u32_e32 v26, 1, v22
	v_cmp_ne_u32_e32 vcc, s4, v26
                                        ; implicit-def: $vgpr25
	s_and_saveexec_b64 s[2:3], vcc
	s_xor_b64 s[2:3], exec, s[2:3]
	s_cbranch_execz .LBB12_40
; %bb.39:                               ;   in Loop: Header=BB12_9 Depth=1
	v_lshlrev_b32_e32 v22, 2, v22
	ds_read_b32 v25, v22 offset:4104
.LBB12_40:                              ;   in Loop: Header=BB12_9 Depth=1
	s_andn2_saveexec_b64 s[2:3], s[2:3]
	s_cbranch_execz .LBB12_42
; %bb.41:                               ;   in Loop: Header=BB12_9 Depth=1
	s_waitcnt lgkmcnt(0)
	v_add_u32_e32 v25, 12, v16
.LBB12_42:                              ;   in Loop: Header=BB12_9 Depth=1
	s_or_b64 exec, exec, s[2:3]
	v_lshlrev_b32_e32 v22, 1, v26
	ds_read_u16 v24, v22
	s_waitcnt lgkmcnt(1)
	v_add_u32_e32 v25, -1, v25
	v_mov_b32_e32 v22, v26
.LBB12_43:                              ;   in Loop: Header=BB12_9 Depth=1
	;; [unrolled: 31-line block ×3, first 2 shown]
	s_or_b64 exec, exec, s[0:1]
	v_add_u32_e32 v16, 6, v16
	v_cmp_eq_u32_e32 vcc, v16, v25
	s_waitcnt lgkmcnt(0)
	v_mov_b32_e32 v16, v26
	s_and_saveexec_b64 s[0:1], vcc
	s_cbranch_execz .LBB12_51
; %bb.50:                               ;   in Loop: Header=BB12_9 Depth=1
	v_lshlrev_b32_e32 v16, 1, v22
	ds_read_u16 v16, v16 offset:2
.LBB12_51:                              ;   in Loop: Header=BB12_9 Depth=1
	s_or_b64 exec, exec, s[0:1]
	s_min_u32 s2, s5, 0x800
	v_cmp_gt_u32_e32 vcc, s2, v14
	s_and_saveexec_b64 s[0:1], vcc
	s_cbranch_execnz .LBB12_59
; %bb.52:                               ;   in Loop: Header=BB12_9 Depth=1
	s_or_b64 exec, exec, s[0:1]
	v_cmp_gt_u32_e32 vcc, s2, v3
	s_and_saveexec_b64 s[0:1], vcc
	s_cbranch_execnz .LBB12_60
.LBB12_53:                              ;   in Loop: Header=BB12_9 Depth=1
	s_or_b64 exec, exec, s[0:1]
	v_cmp_gt_u32_e32 vcc, s2, v4
	s_and_saveexec_b64 s[0:1], vcc
	s_cbranch_execnz .LBB12_61
.LBB12_54:                              ;   in Loop: Header=BB12_9 Depth=1
	s_or_b64 exec, exec, s[0:1]
	v_cmp_gt_u32_e32 vcc, s2, v5
	s_and_saveexec_b64 s[0:1], vcc
	s_cbranch_execnz .LBB12_62
.LBB12_55:                              ;   in Loop: Header=BB12_9 Depth=1
	s_or_b64 exec, exec, s[0:1]
	v_cmp_gt_u32_e32 vcc, s2, v6
	s_and_saveexec_b64 s[0:1], vcc
	s_cbranch_execnz .LBB12_63
.LBB12_56:                              ;   in Loop: Header=BB12_9 Depth=1
	s_or_b64 exec, exec, s[0:1]
	v_cmp_gt_u32_e32 vcc, s2, v7
	s_and_saveexec_b64 s[0:1], vcc
	s_cbranch_execnz .LBB12_64
.LBB12_57:                              ;   in Loop: Header=BB12_9 Depth=1
	s_or_b64 exec, exec, s[0:1]
	v_cmp_gt_u32_e32 vcc, s2, v8
	s_and_saveexec_b64 s[0:1], vcc
	s_cbranch_execnz .LBB12_65
.LBB12_58:                              ;   in Loop: Header=BB12_9 Depth=1
	s_or_b64 exec, exec, s[0:1]
	v_cmp_gt_u32_e32 vcc, s2, v9
	s_and_saveexec_b64 s[0:1], vcc
	s_cbranch_execz .LBB12_8
	s_branch .LBB12_66
.LBB12_59:                              ;   in Loop: Header=BB12_9 Depth=1
	global_store_short v[0:1], v17, off offset:-14
	s_or_b64 exec, exec, s[0:1]
	v_cmp_gt_u32_e32 vcc, s2, v3
	s_and_saveexec_b64 s[0:1], vcc
	s_cbranch_execz .LBB12_53
.LBB12_60:                              ;   in Loop: Header=BB12_9 Depth=1
	global_store_short v[0:1], v19, off offset:-12
	s_or_b64 exec, exec, s[0:1]
	v_cmp_gt_u32_e32 vcc, s2, v4
	s_and_saveexec_b64 s[0:1], vcc
	s_cbranch_execz .LBB12_54
.LBB12_61:                              ;   in Loop: Header=BB12_9 Depth=1
	global_store_short v[0:1], v20, off offset:-10
	s_or_b64 exec, exec, s[0:1]
	v_cmp_gt_u32_e32 vcc, s2, v5
	s_and_saveexec_b64 s[0:1], vcc
	s_cbranch_execz .LBB12_55
.LBB12_62:                              ;   in Loop: Header=BB12_9 Depth=1
	global_store_short v[0:1], v21, off offset:-8
	s_or_b64 exec, exec, s[0:1]
	v_cmp_gt_u32_e32 vcc, s2, v6
	s_and_saveexec_b64 s[0:1], vcc
	s_cbranch_execz .LBB12_56
.LBB12_63:                              ;   in Loop: Header=BB12_9 Depth=1
	global_store_short v[0:1], v23, off offset:-6
	s_or_b64 exec, exec, s[0:1]
	v_cmp_gt_u32_e32 vcc, s2, v7
	s_and_saveexec_b64 s[0:1], vcc
	s_cbranch_execz .LBB12_57
.LBB12_64:                              ;   in Loop: Header=BB12_9 Depth=1
	global_store_short v[0:1], v24, off offset:-4
	s_or_b64 exec, exec, s[0:1]
	v_cmp_gt_u32_e32 vcc, s2, v8
	s_and_saveexec_b64 s[0:1], vcc
	s_cbranch_execz .LBB12_58
.LBB12_65:                              ;   in Loop: Header=BB12_9 Depth=1
	global_store_short v[0:1], v26, off offset:-2
	s_or_b64 exec, exec, s[0:1]
	v_cmp_gt_u32_e32 vcc, s2, v9
	s_and_saveexec_b64 s[0:1], vcc
	s_cbranch_execz .LBB12_8
.LBB12_66:                              ;   in Loop: Header=BB12_9 Depth=1
	s_waitcnt lgkmcnt(0)
	global_store_short v[0:1], v16, off
	s_branch .LBB12_8
.LBB12_67:
	s_endpgm
	.section	.rodata,"a",@progbits
	.p2align	6, 0x0
	.amdhsa_kernel _Z30block_run_length_decode_kernelI12hip_bfloat16iLj256ELj8ELj8EEvPKT_PKT0_PS1_
		.amdhsa_group_segment_fixed_size 12288
		.amdhsa_private_segment_fixed_size 0
		.amdhsa_kernarg_size 24
		.amdhsa_user_sgpr_count 6
		.amdhsa_user_sgpr_private_segment_buffer 1
		.amdhsa_user_sgpr_dispatch_ptr 0
		.amdhsa_user_sgpr_queue_ptr 0
		.amdhsa_user_sgpr_kernarg_segment_ptr 1
		.amdhsa_user_sgpr_dispatch_id 0
		.amdhsa_user_sgpr_flat_scratch_init 0
		.amdhsa_user_sgpr_kernarg_preload_length 0
		.amdhsa_user_sgpr_kernarg_preload_offset 0
		.amdhsa_user_sgpr_private_segment_size 0
		.amdhsa_uses_dynamic_stack 0
		.amdhsa_system_sgpr_private_segment_wavefront_offset 0
		.amdhsa_system_sgpr_workgroup_id_x 1
		.amdhsa_system_sgpr_workgroup_id_y 0
		.amdhsa_system_sgpr_workgroup_id_z 0
		.amdhsa_system_sgpr_workgroup_info 0
		.amdhsa_system_vgpr_workitem_id 0
		.amdhsa_next_free_vgpr 28
		.amdhsa_next_free_sgpr 8
		.amdhsa_accum_offset 28
		.amdhsa_reserve_vcc 1
		.amdhsa_reserve_flat_scratch 0
		.amdhsa_float_round_mode_32 0
		.amdhsa_float_round_mode_16_64 0
		.amdhsa_float_denorm_mode_32 3
		.amdhsa_float_denorm_mode_16_64 3
		.amdhsa_dx10_clamp 1
		.amdhsa_ieee_mode 1
		.amdhsa_fp16_overflow 0
		.amdhsa_tg_split 0
		.amdhsa_exception_fp_ieee_invalid_op 0
		.amdhsa_exception_fp_denorm_src 0
		.amdhsa_exception_fp_ieee_div_zero 0
		.amdhsa_exception_fp_ieee_overflow 0
		.amdhsa_exception_fp_ieee_underflow 0
		.amdhsa_exception_fp_ieee_inexact 0
		.amdhsa_exception_int_div_zero 0
	.end_amdhsa_kernel
	.section	.text._Z30block_run_length_decode_kernelI12hip_bfloat16iLj256ELj8ELj8EEvPKT_PKT0_PS1_,"axG",@progbits,_Z30block_run_length_decode_kernelI12hip_bfloat16iLj256ELj8ELj8EEvPKT_PKT0_PS1_,comdat
.Lfunc_end12:
	.size	_Z30block_run_length_decode_kernelI12hip_bfloat16iLj256ELj8ELj8EEvPKT_PKT0_PS1_, .Lfunc_end12-_Z30block_run_length_decode_kernelI12hip_bfloat16iLj256ELj8ELj8EEvPKT_PKT0_PS1_
                                        ; -- End function
	.section	.AMDGPU.csdata,"",@progbits
; Kernel info:
; codeLenInByte = 2584
; NumSgprs: 12
; NumVgprs: 28
; NumAgprs: 0
; TotalNumVgprs: 28
; ScratchSize: 0
; MemoryBound: 0
; FloatMode: 240
; IeeeMode: 1
; LDSByteSize: 12288 bytes/workgroup (compile time only)
; SGPRBlocks: 1
; VGPRBlocks: 3
; NumSGPRsForWavesPerEU: 12
; NumVGPRsForWavesPerEU: 28
; AccumOffset: 28
; Occupancy: 5
; WaveLimiterHint : 0
; COMPUTE_PGM_RSRC2:SCRATCH_EN: 0
; COMPUTE_PGM_RSRC2:USER_SGPR: 6
; COMPUTE_PGM_RSRC2:TRAP_HANDLER: 0
; COMPUTE_PGM_RSRC2:TGID_X_EN: 1
; COMPUTE_PGM_RSRC2:TGID_Y_EN: 0
; COMPUTE_PGM_RSRC2:TGID_Z_EN: 0
; COMPUTE_PGM_RSRC2:TIDIG_COMP_CNT: 0
; COMPUTE_PGM_RSRC3_GFX90A:ACCUM_OFFSET: 6
; COMPUTE_PGM_RSRC3_GFX90A:TG_SPLIT: 0
	.section	.text._Z30block_run_length_decode_kernelI6__halfiLj256ELj8ELj8EEvPKT_PKT0_PS1_,"axG",@progbits,_Z30block_run_length_decode_kernelI6__halfiLj256ELj8ELj8EEvPKT_PKT0_PS1_,comdat
	.protected	_Z30block_run_length_decode_kernelI6__halfiLj256ELj8ELj8EEvPKT_PKT0_PS1_ ; -- Begin function _Z30block_run_length_decode_kernelI6__halfiLj256ELj8ELj8EEvPKT_PKT0_PS1_
	.globl	_Z30block_run_length_decode_kernelI6__halfiLj256ELj8ELj8EEvPKT_PKT0_PS1_
	.p2align	8
	.type	_Z30block_run_length_decode_kernelI6__halfiLj256ELj8ELj8EEvPKT_PKT0_PS1_,@function
_Z30block_run_length_decode_kernelI6__halfiLj256ELj8ELj8EEvPKT_PKT0_PS1_: ; @_Z30block_run_length_decode_kernelI6__halfiLj256ELj8ELj8EEvPKT_PKT0_PS1_
; %bb.0:
	s_load_dwordx4 s[0:3], s[4:5], 0x0
	v_lshlrev_b32_e32 v18, 3, v0
	v_lshl_or_b32 v14, s6, 11, v18
	v_mov_b32_e32 v15, 0
	v_lshlrev_b64 v[2:3], 2, v[14:15]
	s_waitcnt lgkmcnt(0)
	v_mov_b32_e32 v1, s3
	v_add_co_u32_e32 v2, vcc, s2, v2
	v_addc_co_u32_e32 v3, vcc, v1, v3, vcc
	global_load_dwordx4 v[10:13], v[2:3], off
	global_load_dwordx4 v[6:9], v[2:3], off offset:16
	v_lshlrev_b64 v[16:17], 1, v[14:15]
	v_mov_b32_e32 v1, s1
	v_add_co_u32_e32 v2, vcc, s0, v16
	v_addc_co_u32_e32 v3, vcc, v1, v17, vcc
	global_load_dwordx4 v[2:5], v[2:3], off
	v_mbcnt_lo_u32_b32 v1, -1, 0
	v_mbcnt_hi_u32_b32 v1, -1, v1
	v_and_b32_e32 v20, 15, v1
	v_cmp_ne_u32_e32 vcc, 0, v20
	v_bfe_i32 v21, v1, 4, 1
	v_or_b32_e32 v19, 63, v0
	v_lshrrev_b32_e32 v15, 6, v0
	s_waitcnt vmcnt(2)
	v_add_u32_e32 v22, v11, v10
	v_add3_u32 v22, v22, v12, v13
	s_waitcnt vmcnt(1)
	v_add3_u32 v22, v22, v6, v7
	v_add3_u32 v9, v22, v8, v9
	s_nop 1
	v_mov_b32_dpp v22, v9 row_shr:1 row_mask:0xf bank_mask:0xf
	v_cndmask_b32_e32 v22, 0, v22, vcc
	v_add_u32_e32 v9, v22, v9
	v_cmp_lt_u32_e32 vcc, 1, v20
	s_nop 0
	v_mov_b32_dpp v22, v9 row_shr:2 row_mask:0xf bank_mask:0xf
	v_cndmask_b32_e32 v22, 0, v22, vcc
	v_add_u32_e32 v9, v9, v22
	v_cmp_lt_u32_e32 vcc, 3, v20
	;; [unrolled: 5-line block ×4, first 2 shown]
	s_nop 0
	v_mov_b32_dpp v20, v9 row_bcast:15 row_mask:0xf bank_mask:0xf
	v_and_b32_e32 v20, v21, v20
	v_add_u32_e32 v9, v9, v20
	s_nop 1
	v_mov_b32_dpp v20, v9 row_bcast:31 row_mask:0xf bank_mask:0xf
	v_cndmask_b32_e32 v20, 0, v20, vcc
	v_add_u32_e32 v9, v9, v20
	v_cmp_eq_u32_e32 vcc, v19, v0
	s_and_saveexec_b64 s[0:1], vcc
	s_cbranch_execz .LBB13_2
; %bb.1:
	v_lshlrev_b32_e32 v19, 2, v15
	ds_write_b32 v19, v9
.LBB13_2:
	s_or_b64 exec, exec, s[0:1]
	v_cmp_gt_u32_e32 vcc, 4, v0
	s_waitcnt lgkmcnt(0)
	s_barrier
	s_and_saveexec_b64 s[0:1], vcc
	s_cbranch_execz .LBB13_4
; %bb.3:
	v_lshlrev_b32_e32 v19, 2, v0
	ds_read_b32 v20, v19
	v_and_b32_e32 v21, 3, v1
	v_cmp_ne_u32_e32 vcc, 0, v21
	s_waitcnt lgkmcnt(0)
	v_mov_b32_dpp v22, v20 row_shr:1 row_mask:0xf bank_mask:0xf
	v_cndmask_b32_e32 v22, 0, v22, vcc
	v_add_u32_e32 v20, v22, v20
	v_cmp_lt_u32_e32 vcc, 1, v21
	s_nop 0
	v_mov_b32_dpp v22, v20 row_shr:2 row_mask:0xf bank_mask:0xf
	v_cndmask_b32_e32 v21, 0, v22, vcc
	v_add_u32_e32 v20, v20, v21
	ds_write_b32 v19, v20
.LBB13_4:
	s_or_b64 exec, exec, s[0:1]
	v_cmp_lt_u32_e32 vcc, 63, v0
	v_mov_b32_e32 v19, 0
	v_mov_b32_e32 v20, 0
	s_waitcnt lgkmcnt(0)
	s_barrier
	s_and_saveexec_b64 s[0:1], vcc
	s_cbranch_execz .LBB13_6
; %bb.5:
	v_lshl_add_u32 v15, v15, 2, -4
	ds_read_b32 v20, v15
.LBB13_6:
	s_or_b64 exec, exec, s[0:1]
	v_add_u32_e32 v15, -1, v1
	v_and_b32_e32 v21, 64, v1
	v_cmp_lt_i32_e32 vcc, v15, v21
	v_cndmask_b32_e32 v15, v15, v1, vcc
	s_waitcnt lgkmcnt(0)
	v_add_u32_e32 v9, v20, v9
	v_lshlrev_b32_e32 v15, 2, v15
	ds_bpermute_b32 v9, v15, v9
	v_cmp_eq_u32_e32 vcc, 0, v1
	v_lshlrev_b32_e32 v15, 2, v18
	s_mov_b32 s6, 0
	s_waitcnt lgkmcnt(0)
	v_cndmask_b32_e32 v1, v9, v20, vcc
	v_cmp_ne_u32_e32 vcc, 0, v0
	v_cndmask_b32_e32 v0, 0, v1, vcc
	v_add_u32_e32 v1, v0, v10
	v_add_u32_e32 v9, v1, v11
	ds_read_b32 v11, v19 offset:12
	v_add_u32_e32 v10, v9, v12
	v_add_u32_e32 v12, v10, v13
	v_add_u32_e32 v19, 0x1000, v15
	v_add_u32_e32 v6, v12, v6
	s_waitcnt lgkmcnt(0)
	s_barrier
	ds_write2_b32 v19, v0, v1 offset1:1
	v_add_u32_e32 v0, 0x1008, v15
	v_cmp_eq_u32_e32 vcc, 0, v11
	v_add_u32_e32 v7, v6, v7
	v_readfirstlane_b32 s7, v11
	v_lshlrev_b32_e32 v13, 1, v18
	ds_write2_b32 v0, v9, v10 offset1:1
	v_add_u32_e32 v0, 0x1010, v15
	s_and_b64 vcc, exec, vcc
	v_add_u32_e32 v8, v7, v8
	ds_write2_b32 v0, v12, v6 offset1:1
	v_add_u32_e32 v0, 0x1018, v15
	s_waitcnt vmcnt(0)
	ds_write_b128 v13, v[2:5]
	ds_write2_b32 v0, v7, v8 offset1:1
	s_waitcnt lgkmcnt(0)
	s_barrier
	s_cbranch_vccnz .LBB13_67
; %bb.7:
	s_load_dwordx2 s[0:1], s[4:5], 0x10
	v_mov_b32_e32 v0, 0
	ds_read_b32 v2, v0 offset:8192
	v_or_b32_e32 v3, 1, v14
	v_or_b32_e32 v4, 2, v14
	s_waitcnt lgkmcnt(0)
	v_mov_b32_e32 v0, s1
	v_add_co_u32_e32 v1, vcc, s0, v16
	v_addc_co_u32_e32 v10, vcc, v17, v0, vcc
	v_add_co_u32_e32 v0, vcc, 14, v1
	v_or_b32_e32 v5, 3, v14
	v_or_b32_e32 v6, 4, v14
	;; [unrolled: 1-line block ×5, first 2 shown]
	v_addc_co_u32_e32 v1, vcc, 0, v10, vcc
	v_mov_b32_e32 v10, 0x401
	v_mov_b32_e32 v11, 0x800
	;; [unrolled: 1-line block ×5, first 2 shown]
	s_movk_i32 s4, 0x7ff
	s_mov_b32 s5, s7
	s_branch .LBB13_9
.LBB13_8:                               ;   in Loop: Header=BB13_9 Depth=1
	s_or_b64 exec, exec, s[0:1]
	s_addk_i32 s6, 0x800
	s_addk_i32 s5, 0xf800
	v_add_co_u32_e32 v0, vcc, 0x1000, v0
	s_cmp_lt_u32 s6, s7
	v_addc_co_u32_e32 v1, vcc, 0, v1, vcc
	s_cbranch_scc0 .LBB13_67
.LBB13_9:                               ; =>This Inner Loop Header: Depth=1
	s_waitcnt lgkmcnt(0)
	v_add_u32_e32 v16, s6, v18
	v_cmp_gt_u32_e32 vcc, v2, v16
	v_cndmask_b32_e32 v19, v13, v15, vcc
	v_lshlrev_b32_e32 v20, 2, v19
	ds_read_b32 v20, v20 offset:4096
	v_cndmask_b32_e64 v17, v10, 0, vcc
	v_cndmask_b32_e32 v21, v11, v12, vcc
	v_or_b32_e32 v22, 1, v19
	s_waitcnt lgkmcnt(0)
	v_cmp_gt_u32_e32 vcc, v20, v16
	v_cndmask_b32_e32 v17, v22, v17, vcc
	v_cndmask_b32_e32 v19, v21, v19, vcc
	v_sub_u32_e32 v20, v19, v17
	v_lshrrev_b16_e32 v21, 15, v20
	v_add_u16_e32 v20, v20, v21
	v_ashrrev_i16_e32 v20, 1, v20
	v_add_u32_sdwa v20, v17, sext(v20) dst_sel:DWORD dst_unused:UNUSED_PAD src0_sel:DWORD src1_sel:WORD_0
	v_min_i32_e32 v20, 0x7ff, v20
	v_lshlrev_b32_e32 v21, 2, v20
	ds_read_b32 v21, v21 offset:4096
	v_add_u32_e32 v22, 1, v20
	s_waitcnt lgkmcnt(0)
	v_cmp_gt_u32_e32 vcc, v21, v16
	v_cndmask_b32_e32 v17, v22, v17, vcc
	v_cndmask_b32_e32 v19, v19, v20, vcc
	v_sub_u32_e32 v20, v19, v17
	v_lshrrev_b16_e32 v21, 15, v20
	v_add_u16_e32 v20, v20, v21
	v_ashrrev_i16_e32 v20, 1, v20
	v_add_u32_sdwa v20, v17, sext(v20) dst_sel:DWORD dst_unused:UNUSED_PAD src0_sel:DWORD src1_sel:WORD_0
	v_min_i32_e32 v20, 0x7ff, v20
	v_lshlrev_b32_e32 v21, 2, v20
	ds_read_b32 v21, v21 offset:4096
	v_add_u32_e32 v22, 1, v20
	;; [unrolled: 13-line block ×8, first 2 shown]
	s_waitcnt lgkmcnt(0)
	v_cmp_gt_u32_e32 vcc, v21, v16
	v_cndmask_b32_e32 v17, v22, v17, vcc
	v_cndmask_b32_e32 v19, v19, v20, vcc
	v_sub_u32_e32 v20, v19, v17
	v_lshrrev_b32_e32 v21, 31, v20
	v_add_u32_e32 v20, v20, v21
	v_ashrrev_i32_e32 v20, 1, v20
	v_add_u32_e32 v20, v20, v17
	v_min_i32_e32 v20, 0x7ff, v20
	v_lshlrev_b32_e32 v21, 2, v20
	ds_read_b32 v21, v21 offset:4096
	v_add_u32_e32 v22, 1, v20
	s_waitcnt lgkmcnt(0)
	v_cmp_gt_u32_e32 vcc, v21, v16
	v_cndmask_b32_e32 v17, v22, v17, vcc
	v_cndmask_b32_e32 v19, v19, v20, vcc
	v_sub_u32_e32 v19, v19, v17
	v_lshrrev_b32_e32 v20, 31, v19
	v_add_u32_e32 v19, v19, v20
	v_ashrrev_i32_e32 v19, 1, v19
	v_add_u32_e32 v19, v19, v17
	v_min_i32_e32 v19, 0x7ff, v19
	v_lshlrev_b32_e32 v20, 2, v19
	ds_read_b32 v20, v20 offset:4096
	v_add_u32_e32 v19, 1, v19
	s_waitcnt lgkmcnt(0)
	v_cmp_gt_u32_e32 vcc, v20, v16
	v_cndmask_b32_e32 v20, v19, v17, vcc
	v_add_u32_e32 v22, -1, v20
	v_cmp_ne_u32_e32 vcc, s4, v22
                                        ; implicit-def: $vgpr19
	s_and_saveexec_b64 s[0:1], vcc
	s_xor_b64 s[0:1], exec, s[0:1]
	s_cbranch_execz .LBB13_11
; %bb.10:                               ;   in Loop: Header=BB13_9 Depth=1
	v_lshlrev_b32_e32 v17, 2, v20
	ds_read_b32 v19, v17 offset:4096
.LBB13_11:                              ;   in Loop: Header=BB13_9 Depth=1
	s_andn2_saveexec_b64 s[0:1], s[0:1]
	s_cbranch_execz .LBB13_13
; %bb.12:                               ;   in Loop: Header=BB13_9 Depth=1
	s_waitcnt lgkmcnt(0)
	v_add_u32_e32 v19, 8, v16
.LBB13_13:                              ;   in Loop: Header=BB13_9 Depth=1
	s_or_b64 exec, exec, s[0:1]
	v_lshlrev_b32_e32 v17, 1, v22
	ds_read_u16 v17, v17
	s_waitcnt lgkmcnt(1)
	v_add_u32_e32 v25, -1, v19
	v_cmp_eq_u32_e32 vcc, v16, v25
	s_waitcnt lgkmcnt(0)
	v_mov_b32_e32 v19, v17
	s_and_saveexec_b64 s[0:1], vcc
	s_cbranch_execz .LBB13_19
; %bb.14:                               ;   in Loop: Header=BB13_9 Depth=1
	v_cmp_ne_u32_e32 vcc, s4, v20
                                        ; implicit-def: $vgpr21
	s_and_saveexec_b64 s[2:3], vcc
	s_xor_b64 s[2:3], exec, s[2:3]
	s_cbranch_execz .LBB13_16
; %bb.15:                               ;   in Loop: Header=BB13_9 Depth=1
	v_lshlrev_b32_e32 v19, 2, v20
	ds_read_b32 v21, v19 offset:4100
.LBB13_16:                              ;   in Loop: Header=BB13_9 Depth=1
	s_andn2_saveexec_b64 s[2:3], s[2:3]
	s_cbranch_execz .LBB13_18
; %bb.17:                               ;   in Loop: Header=BB13_9 Depth=1
	s_waitcnt lgkmcnt(0)
	v_add_u32_e32 v21, 8, v16
.LBB13_18:                              ;   in Loop: Header=BB13_9 Depth=1
	s_or_b64 exec, exec, s[2:3]
	v_lshlrev_b32_e32 v19, 1, v20
	ds_read_u16 v19, v19
	s_waitcnt lgkmcnt(1)
	v_add_u32_e32 v25, -1, v21
	v_mov_b32_e32 v22, v20
.LBB13_19:                              ;   in Loop: Header=BB13_9 Depth=1
	s_or_b64 exec, exec, s[0:1]
	v_add_u32_e32 v20, 1, v16
	v_cmp_eq_u32_e32 vcc, v20, v25
	s_waitcnt lgkmcnt(0)
	v_mov_b32_e32 v20, v19
	s_and_saveexec_b64 s[0:1], vcc
	s_cbranch_execz .LBB13_25
; %bb.20:                               ;   in Loop: Header=BB13_9 Depth=1
	v_add_u32_e32 v21, 1, v22
	v_cmp_ne_u32_e32 vcc, s4, v21
                                        ; implicit-def: $vgpr23
	s_and_saveexec_b64 s[2:3], vcc
	s_xor_b64 s[2:3], exec, s[2:3]
	s_cbranch_execz .LBB13_22
; %bb.21:                               ;   in Loop: Header=BB13_9 Depth=1
	v_lshlrev_b32_e32 v20, 2, v22
	ds_read_b32 v23, v20 offset:4104
.LBB13_22:                              ;   in Loop: Header=BB13_9 Depth=1
	s_andn2_saveexec_b64 s[2:3], s[2:3]
	s_cbranch_execz .LBB13_24
; %bb.23:                               ;   in Loop: Header=BB13_9 Depth=1
	s_waitcnt lgkmcnt(0)
	v_add_u32_e32 v23, 9, v16
.LBB13_24:                              ;   in Loop: Header=BB13_9 Depth=1
	s_or_b64 exec, exec, s[2:3]
	v_lshlrev_b32_e32 v20, 1, v21
	ds_read_u16 v20, v20
	s_waitcnt lgkmcnt(1)
	v_add_u32_e32 v25, -1, v23
	v_mov_b32_e32 v22, v21
.LBB13_25:                              ;   in Loop: Header=BB13_9 Depth=1
	s_or_b64 exec, exec, s[0:1]
	v_add_u32_e32 v21, 2, v16
	v_cmp_eq_u32_e32 vcc, v21, v25
	s_waitcnt lgkmcnt(0)
	v_mov_b32_e32 v21, v20
	s_and_saveexec_b64 s[0:1], vcc
	s_cbranch_execz .LBB13_31
; %bb.26:                               ;   in Loop: Header=BB13_9 Depth=1
	v_add_u32_e32 v23, 1, v22
	v_cmp_ne_u32_e32 vcc, s4, v23
                                        ; implicit-def: $vgpr24
	s_and_saveexec_b64 s[2:3], vcc
	s_xor_b64 s[2:3], exec, s[2:3]
	s_cbranch_execz .LBB13_28
; %bb.27:                               ;   in Loop: Header=BB13_9 Depth=1
	v_lshlrev_b32_e32 v21, 2, v22
	ds_read_b32 v24, v21 offset:4104
.LBB13_28:                              ;   in Loop: Header=BB13_9 Depth=1
	s_andn2_saveexec_b64 s[2:3], s[2:3]
	s_cbranch_execz .LBB13_30
; %bb.29:                               ;   in Loop: Header=BB13_9 Depth=1
	s_waitcnt lgkmcnt(0)
	v_add_u32_e32 v24, 10, v16
.LBB13_30:                              ;   in Loop: Header=BB13_9 Depth=1
	s_or_b64 exec, exec, s[2:3]
	v_lshlrev_b32_e32 v21, 1, v23
	ds_read_u16 v21, v21
	s_waitcnt lgkmcnt(1)
	v_add_u32_e32 v25, -1, v24
	v_mov_b32_e32 v22, v23
.LBB13_31:                              ;   in Loop: Header=BB13_9 Depth=1
	s_or_b64 exec, exec, s[0:1]
	v_add_u32_e32 v23, 3, v16
	v_cmp_eq_u32_e32 vcc, v23, v25
	s_waitcnt lgkmcnt(0)
	v_mov_b32_e32 v23, v21
	s_and_saveexec_b64 s[0:1], vcc
	s_cbranch_execz .LBB13_37
; %bb.32:                               ;   in Loop: Header=BB13_9 Depth=1
	v_add_u32_e32 v24, 1, v22
	v_cmp_ne_u32_e32 vcc, s4, v24
                                        ; implicit-def: $vgpr25
	s_and_saveexec_b64 s[2:3], vcc
	s_xor_b64 s[2:3], exec, s[2:3]
	s_cbranch_execz .LBB13_34
; %bb.33:                               ;   in Loop: Header=BB13_9 Depth=1
	v_lshlrev_b32_e32 v22, 2, v22
	ds_read_b32 v25, v22 offset:4104
.LBB13_34:                              ;   in Loop: Header=BB13_9 Depth=1
	s_andn2_saveexec_b64 s[2:3], s[2:3]
	s_cbranch_execz .LBB13_36
; %bb.35:                               ;   in Loop: Header=BB13_9 Depth=1
	s_waitcnt lgkmcnt(0)
	v_add_u32_e32 v25, 11, v16
.LBB13_36:                              ;   in Loop: Header=BB13_9 Depth=1
	s_or_b64 exec, exec, s[2:3]
	v_lshlrev_b32_e32 v22, 1, v24
	ds_read_u16 v23, v22
	s_waitcnt lgkmcnt(1)
	v_add_u32_e32 v25, -1, v25
	v_mov_b32_e32 v22, v24
.LBB13_37:                              ;   in Loop: Header=BB13_9 Depth=1
	s_or_b64 exec, exec, s[0:1]
	v_add_u32_e32 v24, 4, v16
	v_cmp_eq_u32_e32 vcc, v24, v25
	s_waitcnt lgkmcnt(0)
	v_mov_b32_e32 v24, v23
	s_and_saveexec_b64 s[0:1], vcc
	s_cbranch_execz .LBB13_43
; %bb.38:                               ;   in Loop: Header=BB13_9 Depth=1
	v_add_u32_e32 v26, 1, v22
	v_cmp_ne_u32_e32 vcc, s4, v26
                                        ; implicit-def: $vgpr25
	s_and_saveexec_b64 s[2:3], vcc
	s_xor_b64 s[2:3], exec, s[2:3]
	s_cbranch_execz .LBB13_40
; %bb.39:                               ;   in Loop: Header=BB13_9 Depth=1
	v_lshlrev_b32_e32 v22, 2, v22
	ds_read_b32 v25, v22 offset:4104
.LBB13_40:                              ;   in Loop: Header=BB13_9 Depth=1
	s_andn2_saveexec_b64 s[2:3], s[2:3]
	s_cbranch_execz .LBB13_42
; %bb.41:                               ;   in Loop: Header=BB13_9 Depth=1
	s_waitcnt lgkmcnt(0)
	v_add_u32_e32 v25, 12, v16
.LBB13_42:                              ;   in Loop: Header=BB13_9 Depth=1
	s_or_b64 exec, exec, s[2:3]
	v_lshlrev_b32_e32 v22, 1, v26
	ds_read_u16 v24, v22
	s_waitcnt lgkmcnt(1)
	v_add_u32_e32 v25, -1, v25
	v_mov_b32_e32 v22, v26
.LBB13_43:                              ;   in Loop: Header=BB13_9 Depth=1
	;; [unrolled: 31-line block ×3, first 2 shown]
	s_or_b64 exec, exec, s[0:1]
	v_add_u32_e32 v16, 6, v16
	v_cmp_eq_u32_e32 vcc, v16, v25
	s_waitcnt lgkmcnt(0)
	v_mov_b32_e32 v16, v26
	s_and_saveexec_b64 s[0:1], vcc
	s_cbranch_execz .LBB13_51
; %bb.50:                               ;   in Loop: Header=BB13_9 Depth=1
	v_lshlrev_b32_e32 v16, 1, v22
	ds_read_u16 v16, v16 offset:2
.LBB13_51:                              ;   in Loop: Header=BB13_9 Depth=1
	s_or_b64 exec, exec, s[0:1]
	s_min_u32 s2, s5, 0x800
	v_cmp_gt_u32_e32 vcc, s2, v14
	s_and_saveexec_b64 s[0:1], vcc
	s_cbranch_execnz .LBB13_59
; %bb.52:                               ;   in Loop: Header=BB13_9 Depth=1
	s_or_b64 exec, exec, s[0:1]
	v_cmp_gt_u32_e32 vcc, s2, v3
	s_and_saveexec_b64 s[0:1], vcc
	s_cbranch_execnz .LBB13_60
.LBB13_53:                              ;   in Loop: Header=BB13_9 Depth=1
	s_or_b64 exec, exec, s[0:1]
	v_cmp_gt_u32_e32 vcc, s2, v4
	s_and_saveexec_b64 s[0:1], vcc
	s_cbranch_execnz .LBB13_61
.LBB13_54:                              ;   in Loop: Header=BB13_9 Depth=1
	s_or_b64 exec, exec, s[0:1]
	v_cmp_gt_u32_e32 vcc, s2, v5
	s_and_saveexec_b64 s[0:1], vcc
	s_cbranch_execnz .LBB13_62
.LBB13_55:                              ;   in Loop: Header=BB13_9 Depth=1
	s_or_b64 exec, exec, s[0:1]
	v_cmp_gt_u32_e32 vcc, s2, v6
	s_and_saveexec_b64 s[0:1], vcc
	s_cbranch_execnz .LBB13_63
.LBB13_56:                              ;   in Loop: Header=BB13_9 Depth=1
	s_or_b64 exec, exec, s[0:1]
	v_cmp_gt_u32_e32 vcc, s2, v7
	s_and_saveexec_b64 s[0:1], vcc
	s_cbranch_execnz .LBB13_64
.LBB13_57:                              ;   in Loop: Header=BB13_9 Depth=1
	s_or_b64 exec, exec, s[0:1]
	v_cmp_gt_u32_e32 vcc, s2, v8
	s_and_saveexec_b64 s[0:1], vcc
	s_cbranch_execnz .LBB13_65
.LBB13_58:                              ;   in Loop: Header=BB13_9 Depth=1
	s_or_b64 exec, exec, s[0:1]
	v_cmp_gt_u32_e32 vcc, s2, v9
	s_and_saveexec_b64 s[0:1], vcc
	s_cbranch_execz .LBB13_8
	s_branch .LBB13_66
.LBB13_59:                              ;   in Loop: Header=BB13_9 Depth=1
	global_store_short v[0:1], v17, off offset:-14
	s_or_b64 exec, exec, s[0:1]
	v_cmp_gt_u32_e32 vcc, s2, v3
	s_and_saveexec_b64 s[0:1], vcc
	s_cbranch_execz .LBB13_53
.LBB13_60:                              ;   in Loop: Header=BB13_9 Depth=1
	global_store_short v[0:1], v19, off offset:-12
	s_or_b64 exec, exec, s[0:1]
	v_cmp_gt_u32_e32 vcc, s2, v4
	s_and_saveexec_b64 s[0:1], vcc
	s_cbranch_execz .LBB13_54
.LBB13_61:                              ;   in Loop: Header=BB13_9 Depth=1
	global_store_short v[0:1], v20, off offset:-10
	s_or_b64 exec, exec, s[0:1]
	v_cmp_gt_u32_e32 vcc, s2, v5
	s_and_saveexec_b64 s[0:1], vcc
	s_cbranch_execz .LBB13_55
.LBB13_62:                              ;   in Loop: Header=BB13_9 Depth=1
	global_store_short v[0:1], v21, off offset:-8
	s_or_b64 exec, exec, s[0:1]
	v_cmp_gt_u32_e32 vcc, s2, v6
	s_and_saveexec_b64 s[0:1], vcc
	s_cbranch_execz .LBB13_56
.LBB13_63:                              ;   in Loop: Header=BB13_9 Depth=1
	global_store_short v[0:1], v23, off offset:-6
	s_or_b64 exec, exec, s[0:1]
	v_cmp_gt_u32_e32 vcc, s2, v7
	s_and_saveexec_b64 s[0:1], vcc
	s_cbranch_execz .LBB13_57
.LBB13_64:                              ;   in Loop: Header=BB13_9 Depth=1
	global_store_short v[0:1], v24, off offset:-4
	s_or_b64 exec, exec, s[0:1]
	v_cmp_gt_u32_e32 vcc, s2, v8
	s_and_saveexec_b64 s[0:1], vcc
	s_cbranch_execz .LBB13_58
.LBB13_65:                              ;   in Loop: Header=BB13_9 Depth=1
	global_store_short v[0:1], v26, off offset:-2
	s_or_b64 exec, exec, s[0:1]
	v_cmp_gt_u32_e32 vcc, s2, v9
	s_and_saveexec_b64 s[0:1], vcc
	s_cbranch_execz .LBB13_8
.LBB13_66:                              ;   in Loop: Header=BB13_9 Depth=1
	s_waitcnt lgkmcnt(0)
	global_store_short v[0:1], v16, off
	s_branch .LBB13_8
.LBB13_67:
	s_endpgm
	.section	.rodata,"a",@progbits
	.p2align	6, 0x0
	.amdhsa_kernel _Z30block_run_length_decode_kernelI6__halfiLj256ELj8ELj8EEvPKT_PKT0_PS1_
		.amdhsa_group_segment_fixed_size 12288
		.amdhsa_private_segment_fixed_size 0
		.amdhsa_kernarg_size 24
		.amdhsa_user_sgpr_count 6
		.amdhsa_user_sgpr_private_segment_buffer 1
		.amdhsa_user_sgpr_dispatch_ptr 0
		.amdhsa_user_sgpr_queue_ptr 0
		.amdhsa_user_sgpr_kernarg_segment_ptr 1
		.amdhsa_user_sgpr_dispatch_id 0
		.amdhsa_user_sgpr_flat_scratch_init 0
		.amdhsa_user_sgpr_kernarg_preload_length 0
		.amdhsa_user_sgpr_kernarg_preload_offset 0
		.amdhsa_user_sgpr_private_segment_size 0
		.amdhsa_uses_dynamic_stack 0
		.amdhsa_system_sgpr_private_segment_wavefront_offset 0
		.amdhsa_system_sgpr_workgroup_id_x 1
		.amdhsa_system_sgpr_workgroup_id_y 0
		.amdhsa_system_sgpr_workgroup_id_z 0
		.amdhsa_system_sgpr_workgroup_info 0
		.amdhsa_system_vgpr_workitem_id 0
		.amdhsa_next_free_vgpr 28
		.amdhsa_next_free_sgpr 8
		.amdhsa_accum_offset 28
		.amdhsa_reserve_vcc 1
		.amdhsa_reserve_flat_scratch 0
		.amdhsa_float_round_mode_32 0
		.amdhsa_float_round_mode_16_64 0
		.amdhsa_float_denorm_mode_32 3
		.amdhsa_float_denorm_mode_16_64 3
		.amdhsa_dx10_clamp 1
		.amdhsa_ieee_mode 1
		.amdhsa_fp16_overflow 0
		.amdhsa_tg_split 0
		.amdhsa_exception_fp_ieee_invalid_op 0
		.amdhsa_exception_fp_denorm_src 0
		.amdhsa_exception_fp_ieee_div_zero 0
		.amdhsa_exception_fp_ieee_overflow 0
		.amdhsa_exception_fp_ieee_underflow 0
		.amdhsa_exception_fp_ieee_inexact 0
		.amdhsa_exception_int_div_zero 0
	.end_amdhsa_kernel
	.section	.text._Z30block_run_length_decode_kernelI6__halfiLj256ELj8ELj8EEvPKT_PKT0_PS1_,"axG",@progbits,_Z30block_run_length_decode_kernelI6__halfiLj256ELj8ELj8EEvPKT_PKT0_PS1_,comdat
.Lfunc_end13:
	.size	_Z30block_run_length_decode_kernelI6__halfiLj256ELj8ELj8EEvPKT_PKT0_PS1_, .Lfunc_end13-_Z30block_run_length_decode_kernelI6__halfiLj256ELj8ELj8EEvPKT_PKT0_PS1_
                                        ; -- End function
	.section	.AMDGPU.csdata,"",@progbits
; Kernel info:
; codeLenInByte = 2584
; NumSgprs: 12
; NumVgprs: 28
; NumAgprs: 0
; TotalNumVgprs: 28
; ScratchSize: 0
; MemoryBound: 0
; FloatMode: 240
; IeeeMode: 1
; LDSByteSize: 12288 bytes/workgroup (compile time only)
; SGPRBlocks: 1
; VGPRBlocks: 3
; NumSGPRsForWavesPerEU: 12
; NumVGPRsForWavesPerEU: 28
; AccumOffset: 28
; Occupancy: 5
; WaveLimiterHint : 0
; COMPUTE_PGM_RSRC2:SCRATCH_EN: 0
; COMPUTE_PGM_RSRC2:USER_SGPR: 6
; COMPUTE_PGM_RSRC2:TRAP_HANDLER: 0
; COMPUTE_PGM_RSRC2:TGID_X_EN: 1
; COMPUTE_PGM_RSRC2:TGID_Y_EN: 0
; COMPUTE_PGM_RSRC2:TGID_Z_EN: 0
; COMPUTE_PGM_RSRC2:TIDIG_COMP_CNT: 0
; COMPUTE_PGM_RSRC3_GFX90A:ACCUM_OFFSET: 6
; COMPUTE_PGM_RSRC3_GFX90A:TG_SPLIT: 0
	.section	.text._Z30block_run_length_decode_kernelIfiLj256ELj8ELj8EEvPKT_PKT0_PS0_,"axG",@progbits,_Z30block_run_length_decode_kernelIfiLj256ELj8ELj8EEvPKT_PKT0_PS0_,comdat
	.protected	_Z30block_run_length_decode_kernelIfiLj256ELj8ELj8EEvPKT_PKT0_PS0_ ; -- Begin function _Z30block_run_length_decode_kernelIfiLj256ELj8ELj8EEvPKT_PKT0_PS0_
	.globl	_Z30block_run_length_decode_kernelIfiLj256ELj8ELj8EEvPKT_PKT0_PS0_
	.p2align	8
	.type	_Z30block_run_length_decode_kernelIfiLj256ELj8ELj8EEvPKT_PKT0_PS0_,@function
_Z30block_run_length_decode_kernelIfiLj256ELj8ELj8EEvPKT_PKT0_PS0_: ; @_Z30block_run_length_decode_kernelIfiLj256ELj8ELj8EEvPKT_PKT0_PS0_
; %bb.0:
	s_load_dwordx4 s[0:3], s[4:5], 0x0
	v_lshlrev_b32_e32 v22, 3, v0
	v_lshl_or_b32 v18, s6, 11, v22
	v_mov_b32_e32 v19, 0
	v_lshlrev_b64 v[20:21], 2, v[18:19]
	s_waitcnt lgkmcnt(0)
	v_mov_b32_e32 v1, s3
	v_add_co_u32_e32 v2, vcc, s2, v20
	v_addc_co_u32_e32 v3, vcc, v1, v21, vcc
	global_load_dwordx4 v[14:17], v[2:3], off
	global_load_dwordx4 v[10:13], v[2:3], off offset:16
	v_mov_b32_e32 v1, s1
	v_add_co_u32_e32 v24, vcc, s0, v20
	v_addc_co_u32_e32 v25, vcc, v1, v21, vcc
	global_load_dwordx4 v[2:5], v[24:25], off offset:16
	global_load_dwordx4 v[6:9], v[24:25], off
	v_mbcnt_lo_u32_b32 v1, -1, 0
	v_mbcnt_hi_u32_b32 v1, -1, v1
	v_and_b32_e32 v24, 15, v1
	v_cmp_ne_u32_e32 vcc, 0, v24
	v_bfe_i32 v25, v1, 4, 1
	v_or_b32_e32 v23, 63, v0
	v_lshrrev_b32_e32 v19, 6, v0
	s_waitcnt vmcnt(3)
	v_add_u32_e32 v26, v15, v14
	v_add3_u32 v26, v26, v16, v17
	s_waitcnt vmcnt(2)
	v_add3_u32 v26, v26, v10, v11
	v_add3_u32 v13, v26, v12, v13
	s_nop 1
	v_mov_b32_dpp v26, v13 row_shr:1 row_mask:0xf bank_mask:0xf
	v_cndmask_b32_e32 v26, 0, v26, vcc
	v_add_u32_e32 v13, v26, v13
	v_cmp_lt_u32_e32 vcc, 1, v24
	s_nop 0
	v_mov_b32_dpp v26, v13 row_shr:2 row_mask:0xf bank_mask:0xf
	v_cndmask_b32_e32 v26, 0, v26, vcc
	v_add_u32_e32 v13, v13, v26
	v_cmp_lt_u32_e32 vcc, 3, v24
	;; [unrolled: 5-line block ×4, first 2 shown]
	s_nop 0
	v_mov_b32_dpp v24, v13 row_bcast:15 row_mask:0xf bank_mask:0xf
	v_and_b32_e32 v24, v25, v24
	v_add_u32_e32 v13, v13, v24
	s_nop 1
	v_mov_b32_dpp v24, v13 row_bcast:31 row_mask:0xf bank_mask:0xf
	v_cndmask_b32_e32 v24, 0, v24, vcc
	v_add_u32_e32 v13, v13, v24
	v_cmp_eq_u32_e32 vcc, v23, v0
	s_and_saveexec_b64 s[0:1], vcc
	s_cbranch_execz .LBB14_2
; %bb.1:
	v_lshlrev_b32_e32 v23, 2, v19
	ds_write_b32 v23, v13
.LBB14_2:
	s_or_b64 exec, exec, s[0:1]
	v_cmp_gt_u32_e32 vcc, 4, v0
	s_waitcnt lgkmcnt(0)
	s_barrier
	s_and_saveexec_b64 s[0:1], vcc
	s_cbranch_execz .LBB14_4
; %bb.3:
	v_lshlrev_b32_e32 v23, 2, v0
	ds_read_b32 v24, v23
	v_and_b32_e32 v25, 3, v1
	v_cmp_ne_u32_e32 vcc, 0, v25
	s_waitcnt lgkmcnt(0)
	v_mov_b32_dpp v26, v24 row_shr:1 row_mask:0xf bank_mask:0xf
	v_cndmask_b32_e32 v26, 0, v26, vcc
	v_add_u32_e32 v24, v26, v24
	v_cmp_lt_u32_e32 vcc, 1, v25
	s_nop 0
	v_mov_b32_dpp v26, v24 row_shr:2 row_mask:0xf bank_mask:0xf
	v_cndmask_b32_e32 v25, 0, v26, vcc
	v_add_u32_e32 v24, v24, v25
	ds_write_b32 v23, v24
.LBB14_4:
	s_or_b64 exec, exec, s[0:1]
	v_cmp_lt_u32_e32 vcc, 63, v0
	v_mov_b32_e32 v23, 0
	v_mov_b32_e32 v24, 0
	s_waitcnt lgkmcnt(0)
	s_barrier
	s_and_saveexec_b64 s[0:1], vcc
	s_cbranch_execz .LBB14_6
; %bb.5:
	v_lshl_add_u32 v19, v19, 2, -4
	ds_read_b32 v24, v19
.LBB14_6:
	s_or_b64 exec, exec, s[0:1]
	v_add_u32_e32 v19, -1, v1
	v_and_b32_e32 v25, 64, v1
	v_cmp_lt_i32_e32 vcc, v19, v25
	v_cndmask_b32_e32 v19, v19, v1, vcc
	s_waitcnt lgkmcnt(0)
	v_add_u32_e32 v13, v24, v13
	v_lshlrev_b32_e32 v19, 2, v19
	ds_bpermute_b32 v13, v19, v13
	v_cmp_eq_u32_e32 vcc, 0, v1
	s_mov_b32 s6, 0
	s_waitcnt lgkmcnt(0)
	v_cndmask_b32_e32 v1, v13, v24, vcc
	v_cmp_ne_u32_e32 vcc, 0, v0
	v_cndmask_b32_e32 v0, 0, v1, vcc
	v_add_u32_e32 v1, v0, v14
	v_add_u32_e32 v13, v1, v15
	ds_read_b32 v15, v23 offset:12
	v_add_u32_e32 v14, v13, v16
	v_add_u32_e32 v16, v14, v17
	v_lshlrev_b32_e32 v17, 2, v22
	v_add_u32_e32 v10, v16, v10
	s_waitcnt lgkmcnt(0)
	s_barrier
	v_or_b32_e32 v19, 0x2000, v17
	s_waitcnt vmcnt(0)
	ds_write2_b32 v17, v6, v7 offset1:1
	ds_write2_b32 v19, v0, v1 offset1:1
	v_add_u32_e32 v0, 0x2008, v17
	v_cmp_eq_u32_e32 vcc, 0, v15
	v_add_u32_e32 v11, v10, v11
	v_readfirstlane_b32 s7, v15
	ds_write2_b32 v17, v8, v9 offset0:2 offset1:3
	ds_write2_b32 v0, v13, v14 offset1:1
	v_add_u32_e32 v0, 0x2010, v17
	s_and_b64 vcc, exec, vcc
	v_add_u32_e32 v12, v11, v12
	ds_write2_b32 v17, v2, v3 offset0:4 offset1:5
	ds_write2_b32 v0, v16, v10 offset1:1
	v_add_u32_e32 v0, 0x2018, v17
	ds_write2_b32 v17, v4, v5 offset0:6 offset1:7
	ds_write2_b32 v0, v11, v12 offset1:1
	s_waitcnt lgkmcnt(0)
	s_barrier
	s_cbranch_vccnz .LBB14_67
; %bb.7:
	s_load_dwordx2 s[0:1], s[4:5], 0x10
	v_mov_b32_e32 v0, 0
	ds_read_b32 v2, v0 offset:12288
	v_or_b32_e32 v3, 1, v18
	v_or_b32_e32 v4, 2, v18
	s_waitcnt lgkmcnt(0)
	v_mov_b32_e32 v0, s1
	v_add_co_u32_e32 v1, vcc, s0, v20
	v_addc_co_u32_e32 v10, vcc, v21, v0, vcc
	v_add_co_u32_e32 v0, vcc, 28, v1
	v_or_b32_e32 v5, 3, v18
	v_or_b32_e32 v6, 4, v18
	;; [unrolled: 1-line block ×5, first 2 shown]
	v_addc_co_u32_e32 v1, vcc, 0, v10, vcc
	v_mov_b32_e32 v10, 0x401
	v_mov_b32_e32 v11, 0x800
	;; [unrolled: 1-line block ×5, first 2 shown]
	s_movk_i32 s4, 0x7ff
	s_mov_b32 s5, s7
	s_branch .LBB14_9
.LBB14_8:                               ;   in Loop: Header=BB14_9 Depth=1
	s_or_b64 exec, exec, s[0:1]
	s_addk_i32 s6, 0x800
	s_addk_i32 s5, 0xf800
	v_add_co_u32_e32 v0, vcc, 0x2000, v0
	s_cmp_lt_u32 s6, s7
	v_addc_co_u32_e32 v1, vcc, 0, v1, vcc
	s_cbranch_scc0 .LBB14_67
.LBB14_9:                               ; =>This Inner Loop Header: Depth=1
	s_waitcnt lgkmcnt(0)
	v_add_u32_e32 v15, s6, v22
	v_cmp_gt_u32_e32 vcc, v2, v15
	v_cndmask_b32_e32 v17, v13, v14, vcc
	v_lshlrev_b32_e32 v19, 2, v17
	ds_read_b32 v19, v19 offset:8192
	v_cndmask_b32_e64 v16, v10, 0, vcc
	v_cndmask_b32_e32 v20, v11, v12, vcc
	v_or_b32_e32 v21, 1, v17
	s_waitcnt lgkmcnt(0)
	v_cmp_gt_u32_e32 vcc, v19, v15
	v_cndmask_b32_e32 v16, v21, v16, vcc
	v_cndmask_b32_e32 v17, v20, v17, vcc
	v_sub_u32_e32 v19, v17, v16
	v_lshrrev_b16_e32 v20, 15, v19
	v_add_u16_e32 v19, v19, v20
	v_ashrrev_i16_e32 v19, 1, v19
	v_add_u32_sdwa v19, v16, sext(v19) dst_sel:DWORD dst_unused:UNUSED_PAD src0_sel:DWORD src1_sel:WORD_0
	v_min_i32_e32 v19, 0x7ff, v19
	v_lshlrev_b32_e32 v20, 2, v19
	ds_read_b32 v20, v20 offset:8192
	v_add_u32_e32 v21, 1, v19
	s_waitcnt lgkmcnt(0)
	v_cmp_gt_u32_e32 vcc, v20, v15
	v_cndmask_b32_e32 v16, v21, v16, vcc
	v_cndmask_b32_e32 v17, v17, v19, vcc
	v_sub_u32_e32 v19, v17, v16
	v_lshrrev_b16_e32 v20, 15, v19
	v_add_u16_e32 v19, v19, v20
	v_ashrrev_i16_e32 v19, 1, v19
	v_add_u32_sdwa v19, v16, sext(v19) dst_sel:DWORD dst_unused:UNUSED_PAD src0_sel:DWORD src1_sel:WORD_0
	v_min_i32_e32 v19, 0x7ff, v19
	v_lshlrev_b32_e32 v20, 2, v19
	ds_read_b32 v20, v20 offset:8192
	v_add_u32_e32 v21, 1, v19
	;; [unrolled: 13-line block ×8, first 2 shown]
	s_waitcnt lgkmcnt(0)
	v_cmp_gt_u32_e32 vcc, v20, v15
	v_cndmask_b32_e32 v16, v21, v16, vcc
	v_cndmask_b32_e32 v17, v17, v19, vcc
	v_sub_u32_e32 v19, v17, v16
	v_lshrrev_b32_e32 v20, 31, v19
	v_add_u32_e32 v19, v19, v20
	v_ashrrev_i32_e32 v19, 1, v19
	v_add_u32_e32 v19, v19, v16
	v_min_i32_e32 v19, 0x7ff, v19
	v_lshlrev_b32_e32 v20, 2, v19
	ds_read_b32 v20, v20 offset:8192
	v_add_u32_e32 v21, 1, v19
	s_waitcnt lgkmcnt(0)
	v_cmp_gt_u32_e32 vcc, v20, v15
	v_cndmask_b32_e32 v16, v21, v16, vcc
	v_cndmask_b32_e32 v17, v17, v19, vcc
	v_sub_u32_e32 v17, v17, v16
	v_lshrrev_b32_e32 v19, 31, v17
	v_add_u32_e32 v17, v17, v19
	v_ashrrev_i32_e32 v17, 1, v17
	v_add_u32_e32 v17, v17, v16
	v_min_i32_e32 v17, 0x7ff, v17
	v_lshlrev_b32_e32 v19, 2, v17
	ds_read_b32 v19, v19 offset:8192
	v_add_u32_e32 v17, 1, v17
	s_waitcnt lgkmcnt(0)
	v_cmp_gt_u32_e32 vcc, v19, v15
	v_cndmask_b32_e32 v19, v17, v16, vcc
	v_add_u32_e32 v21, -1, v19
	v_cmp_ne_u32_e32 vcc, s4, v21
                                        ; implicit-def: $vgpr17
	s_and_saveexec_b64 s[0:1], vcc
	s_xor_b64 s[0:1], exec, s[0:1]
	s_cbranch_execz .LBB14_11
; %bb.10:                               ;   in Loop: Header=BB14_9 Depth=1
	v_lshlrev_b32_e32 v16, 2, v19
	ds_read_b32 v17, v16 offset:8192
.LBB14_11:                              ;   in Loop: Header=BB14_9 Depth=1
	s_andn2_saveexec_b64 s[0:1], s[0:1]
	s_cbranch_execz .LBB14_13
; %bb.12:                               ;   in Loop: Header=BB14_9 Depth=1
	s_waitcnt lgkmcnt(0)
	v_add_u32_e32 v17, 8, v15
.LBB14_13:                              ;   in Loop: Header=BB14_9 Depth=1
	s_or_b64 exec, exec, s[0:1]
	v_lshlrev_b32_e32 v16, 2, v21
	ds_read_b32 v16, v16
	s_waitcnt lgkmcnt(1)
	v_add_u32_e32 v25, -1, v17
	v_cmp_eq_u32_e32 vcc, v15, v25
	s_waitcnt lgkmcnt(0)
	v_mov_b32_e32 v17, v16
	s_and_saveexec_b64 s[0:1], vcc
	s_cbranch_execz .LBB14_19
; %bb.14:                               ;   in Loop: Header=BB14_9 Depth=1
	v_cmp_ne_u32_e32 vcc, s4, v19
	v_lshlrev_b32_e32 v17, 2, v19
                                        ; implicit-def: $vgpr20
	s_and_saveexec_b64 s[2:3], vcc
	s_xor_b64 s[2:3], exec, s[2:3]
	s_cbranch_execz .LBB14_16
; %bb.15:                               ;   in Loop: Header=BB14_9 Depth=1
	ds_read_b32 v20, v17 offset:8196
.LBB14_16:                              ;   in Loop: Header=BB14_9 Depth=1
	s_andn2_saveexec_b64 s[2:3], s[2:3]
	s_cbranch_execz .LBB14_18
; %bb.17:                               ;   in Loop: Header=BB14_9 Depth=1
	s_waitcnt lgkmcnt(0)
	v_add_u32_e32 v20, 8, v15
.LBB14_18:                              ;   in Loop: Header=BB14_9 Depth=1
	s_or_b64 exec, exec, s[2:3]
	ds_read_b32 v17, v17
	s_waitcnt lgkmcnt(1)
	v_add_u32_e32 v25, -1, v20
	v_mov_b32_e32 v21, v19
.LBB14_19:                              ;   in Loop: Header=BB14_9 Depth=1
	s_or_b64 exec, exec, s[0:1]
	v_add_u32_e32 v19, 1, v15
	v_cmp_eq_u32_e32 vcc, v19, v25
	s_waitcnt lgkmcnt(0)
	v_mov_b32_e32 v19, v17
	s_and_saveexec_b64 s[0:1], vcc
	s_cbranch_execz .LBB14_25
; %bb.20:                               ;   in Loop: Header=BB14_9 Depth=1
	v_add_u32_e32 v20, 1, v21
	v_cmp_ne_u32_e32 vcc, s4, v20
                                        ; implicit-def: $vgpr23
	s_and_saveexec_b64 s[2:3], vcc
	s_xor_b64 s[2:3], exec, s[2:3]
	s_cbranch_execz .LBB14_22
; %bb.21:                               ;   in Loop: Header=BB14_9 Depth=1
	v_lshlrev_b32_e32 v19, 2, v21
	ds_read_b32 v23, v19 offset:8200
.LBB14_22:                              ;   in Loop: Header=BB14_9 Depth=1
	s_andn2_saveexec_b64 s[2:3], s[2:3]
	s_cbranch_execz .LBB14_24
; %bb.23:                               ;   in Loop: Header=BB14_9 Depth=1
	s_waitcnt lgkmcnt(0)
	v_add_u32_e32 v23, 9, v15
.LBB14_24:                              ;   in Loop: Header=BB14_9 Depth=1
	s_or_b64 exec, exec, s[2:3]
	v_lshlrev_b32_e32 v19, 2, v20
	ds_read_b32 v19, v19
	s_waitcnt lgkmcnt(1)
	v_add_u32_e32 v25, -1, v23
	v_mov_b32_e32 v21, v20
.LBB14_25:                              ;   in Loop: Header=BB14_9 Depth=1
	s_or_b64 exec, exec, s[0:1]
	v_add_u32_e32 v20, 2, v15
	v_cmp_eq_u32_e32 vcc, v20, v25
	s_waitcnt lgkmcnt(0)
	v_mov_b32_e32 v20, v19
	s_and_saveexec_b64 s[0:1], vcc
	s_cbranch_execz .LBB14_31
; %bb.26:                               ;   in Loop: Header=BB14_9 Depth=1
	v_add_u32_e32 v23, 1, v21
	v_cmp_ne_u32_e32 vcc, s4, v23
                                        ; implicit-def: $vgpr24
	s_and_saveexec_b64 s[2:3], vcc
	s_xor_b64 s[2:3], exec, s[2:3]
	s_cbranch_execz .LBB14_28
; %bb.27:                               ;   in Loop: Header=BB14_9 Depth=1
	v_lshlrev_b32_e32 v20, 2, v21
	ds_read_b32 v24, v20 offset:8200
.LBB14_28:                              ;   in Loop: Header=BB14_9 Depth=1
	s_andn2_saveexec_b64 s[2:3], s[2:3]
	s_cbranch_execz .LBB14_30
; %bb.29:                               ;   in Loop: Header=BB14_9 Depth=1
	s_waitcnt lgkmcnt(0)
	v_add_u32_e32 v24, 10, v15
.LBB14_30:                              ;   in Loop: Header=BB14_9 Depth=1
	s_or_b64 exec, exec, s[2:3]
	v_lshlrev_b32_e32 v20, 2, v23
	ds_read_b32 v20, v20
	s_waitcnt lgkmcnt(1)
	v_add_u32_e32 v25, -1, v24
	v_mov_b32_e32 v21, v23
.LBB14_31:                              ;   in Loop: Header=BB14_9 Depth=1
	s_or_b64 exec, exec, s[0:1]
	v_add_u32_e32 v23, 3, v15
	v_cmp_eq_u32_e32 vcc, v23, v25
	s_waitcnt lgkmcnt(0)
	v_mov_b32_e32 v23, v20
	s_and_saveexec_b64 s[0:1], vcc
	s_cbranch_execz .LBB14_37
; %bb.32:                               ;   in Loop: Header=BB14_9 Depth=1
	v_add_u32_e32 v24, 1, v21
	v_cmp_ne_u32_e32 vcc, s4, v24
                                        ; implicit-def: $vgpr25
	s_and_saveexec_b64 s[2:3], vcc
	s_xor_b64 s[2:3], exec, s[2:3]
	s_cbranch_execz .LBB14_34
; %bb.33:                               ;   in Loop: Header=BB14_9 Depth=1
	v_lshlrev_b32_e32 v21, 2, v21
	ds_read_b32 v25, v21 offset:8200
.LBB14_34:                              ;   in Loop: Header=BB14_9 Depth=1
	s_andn2_saveexec_b64 s[2:3], s[2:3]
	s_cbranch_execz .LBB14_36
; %bb.35:                               ;   in Loop: Header=BB14_9 Depth=1
	s_waitcnt lgkmcnt(0)
	v_add_u32_e32 v25, 11, v15
.LBB14_36:                              ;   in Loop: Header=BB14_9 Depth=1
	s_or_b64 exec, exec, s[2:3]
	v_lshlrev_b32_e32 v21, 2, v24
	ds_read_b32 v23, v21
	s_waitcnt lgkmcnt(1)
	v_add_u32_e32 v25, -1, v25
	v_mov_b32_e32 v21, v24
.LBB14_37:                              ;   in Loop: Header=BB14_9 Depth=1
	s_or_b64 exec, exec, s[0:1]
	v_add_u32_e32 v24, 4, v15
	v_cmp_eq_u32_e32 vcc, v24, v25
	s_waitcnt lgkmcnt(0)
	v_mov_b32_e32 v24, v23
	s_and_saveexec_b64 s[0:1], vcc
	s_cbranch_execz .LBB14_43
; %bb.38:                               ;   in Loop: Header=BB14_9 Depth=1
	v_add_u32_e32 v26, 1, v21
	v_cmp_ne_u32_e32 vcc, s4, v26
                                        ; implicit-def: $vgpr25
	s_and_saveexec_b64 s[2:3], vcc
	s_xor_b64 s[2:3], exec, s[2:3]
	s_cbranch_execz .LBB14_40
; %bb.39:                               ;   in Loop: Header=BB14_9 Depth=1
	v_lshlrev_b32_e32 v21, 2, v21
	ds_read_b32 v25, v21 offset:8200
.LBB14_40:                              ;   in Loop: Header=BB14_9 Depth=1
	s_andn2_saveexec_b64 s[2:3], s[2:3]
	s_cbranch_execz .LBB14_42
; %bb.41:                               ;   in Loop: Header=BB14_9 Depth=1
	s_waitcnt lgkmcnt(0)
	v_add_u32_e32 v25, 12, v15
.LBB14_42:                              ;   in Loop: Header=BB14_9 Depth=1
	s_or_b64 exec, exec, s[2:3]
	v_lshlrev_b32_e32 v21, 2, v26
	ds_read_b32 v24, v21
	s_waitcnt lgkmcnt(1)
	v_add_u32_e32 v25, -1, v25
	v_mov_b32_e32 v21, v26
.LBB14_43:                              ;   in Loop: Header=BB14_9 Depth=1
	;; [unrolled: 31-line block ×3, first 2 shown]
	s_or_b64 exec, exec, s[0:1]
	v_add_u32_e32 v15, 6, v15
	v_cmp_eq_u32_e32 vcc, v15, v25
	s_waitcnt lgkmcnt(0)
	v_mov_b32_e32 v15, v26
	s_and_saveexec_b64 s[0:1], vcc
	s_cbranch_execz .LBB14_51
; %bb.50:                               ;   in Loop: Header=BB14_9 Depth=1
	v_lshlrev_b32_e32 v15, 2, v21
	ds_read_b32 v15, v15 offset:4
.LBB14_51:                              ;   in Loop: Header=BB14_9 Depth=1
	s_or_b64 exec, exec, s[0:1]
	s_min_u32 s2, s5, 0x800
	v_cmp_gt_u32_e32 vcc, s2, v18
	s_and_saveexec_b64 s[0:1], vcc
	s_cbranch_execnz .LBB14_59
; %bb.52:                               ;   in Loop: Header=BB14_9 Depth=1
	s_or_b64 exec, exec, s[0:1]
	v_cmp_gt_u32_e32 vcc, s2, v3
	s_and_saveexec_b64 s[0:1], vcc
	s_cbranch_execnz .LBB14_60
.LBB14_53:                              ;   in Loop: Header=BB14_9 Depth=1
	s_or_b64 exec, exec, s[0:1]
	v_cmp_gt_u32_e32 vcc, s2, v4
	s_and_saveexec_b64 s[0:1], vcc
	s_cbranch_execnz .LBB14_61
.LBB14_54:                              ;   in Loop: Header=BB14_9 Depth=1
	s_or_b64 exec, exec, s[0:1]
	v_cmp_gt_u32_e32 vcc, s2, v5
	s_and_saveexec_b64 s[0:1], vcc
	s_cbranch_execnz .LBB14_62
.LBB14_55:                              ;   in Loop: Header=BB14_9 Depth=1
	s_or_b64 exec, exec, s[0:1]
	v_cmp_gt_u32_e32 vcc, s2, v6
	s_and_saveexec_b64 s[0:1], vcc
	s_cbranch_execnz .LBB14_63
.LBB14_56:                              ;   in Loop: Header=BB14_9 Depth=1
	s_or_b64 exec, exec, s[0:1]
	v_cmp_gt_u32_e32 vcc, s2, v7
	s_and_saveexec_b64 s[0:1], vcc
	s_cbranch_execnz .LBB14_64
.LBB14_57:                              ;   in Loop: Header=BB14_9 Depth=1
	s_or_b64 exec, exec, s[0:1]
	v_cmp_gt_u32_e32 vcc, s2, v8
	s_and_saveexec_b64 s[0:1], vcc
	s_cbranch_execnz .LBB14_65
.LBB14_58:                              ;   in Loop: Header=BB14_9 Depth=1
	s_or_b64 exec, exec, s[0:1]
	v_cmp_gt_u32_e32 vcc, s2, v9
	s_and_saveexec_b64 s[0:1], vcc
	s_cbranch_execz .LBB14_8
	s_branch .LBB14_66
.LBB14_59:                              ;   in Loop: Header=BB14_9 Depth=1
	global_store_dword v[0:1], v16, off offset:-28
	s_or_b64 exec, exec, s[0:1]
	v_cmp_gt_u32_e32 vcc, s2, v3
	s_and_saveexec_b64 s[0:1], vcc
	s_cbranch_execz .LBB14_53
.LBB14_60:                              ;   in Loop: Header=BB14_9 Depth=1
	global_store_dword v[0:1], v17, off offset:-24
	s_or_b64 exec, exec, s[0:1]
	v_cmp_gt_u32_e32 vcc, s2, v4
	s_and_saveexec_b64 s[0:1], vcc
	s_cbranch_execz .LBB14_54
.LBB14_61:                              ;   in Loop: Header=BB14_9 Depth=1
	global_store_dword v[0:1], v19, off offset:-20
	s_or_b64 exec, exec, s[0:1]
	v_cmp_gt_u32_e32 vcc, s2, v5
	s_and_saveexec_b64 s[0:1], vcc
	s_cbranch_execz .LBB14_55
.LBB14_62:                              ;   in Loop: Header=BB14_9 Depth=1
	global_store_dword v[0:1], v20, off offset:-16
	s_or_b64 exec, exec, s[0:1]
	v_cmp_gt_u32_e32 vcc, s2, v6
	s_and_saveexec_b64 s[0:1], vcc
	s_cbranch_execz .LBB14_56
.LBB14_63:                              ;   in Loop: Header=BB14_9 Depth=1
	global_store_dword v[0:1], v23, off offset:-12
	s_or_b64 exec, exec, s[0:1]
	v_cmp_gt_u32_e32 vcc, s2, v7
	s_and_saveexec_b64 s[0:1], vcc
	s_cbranch_execz .LBB14_57
.LBB14_64:                              ;   in Loop: Header=BB14_9 Depth=1
	global_store_dword v[0:1], v24, off offset:-8
	s_or_b64 exec, exec, s[0:1]
	v_cmp_gt_u32_e32 vcc, s2, v8
	s_and_saveexec_b64 s[0:1], vcc
	s_cbranch_execz .LBB14_58
.LBB14_65:                              ;   in Loop: Header=BB14_9 Depth=1
	global_store_dword v[0:1], v26, off offset:-4
	s_or_b64 exec, exec, s[0:1]
	v_cmp_gt_u32_e32 vcc, s2, v9
	s_and_saveexec_b64 s[0:1], vcc
	s_cbranch_execz .LBB14_8
.LBB14_66:                              ;   in Loop: Header=BB14_9 Depth=1
	s_waitcnt lgkmcnt(0)
	global_store_dword v[0:1], v15, off
	s_branch .LBB14_8
.LBB14_67:
	s_endpgm
	.section	.rodata,"a",@progbits
	.p2align	6, 0x0
	.amdhsa_kernel _Z30block_run_length_decode_kernelIfiLj256ELj8ELj8EEvPKT_PKT0_PS0_
		.amdhsa_group_segment_fixed_size 16384
		.amdhsa_private_segment_fixed_size 0
		.amdhsa_kernarg_size 24
		.amdhsa_user_sgpr_count 6
		.amdhsa_user_sgpr_private_segment_buffer 1
		.amdhsa_user_sgpr_dispatch_ptr 0
		.amdhsa_user_sgpr_queue_ptr 0
		.amdhsa_user_sgpr_kernarg_segment_ptr 1
		.amdhsa_user_sgpr_dispatch_id 0
		.amdhsa_user_sgpr_flat_scratch_init 0
		.amdhsa_user_sgpr_kernarg_preload_length 0
		.amdhsa_user_sgpr_kernarg_preload_offset 0
		.amdhsa_user_sgpr_private_segment_size 0
		.amdhsa_uses_dynamic_stack 0
		.amdhsa_system_sgpr_private_segment_wavefront_offset 0
		.amdhsa_system_sgpr_workgroup_id_x 1
		.amdhsa_system_sgpr_workgroup_id_y 0
		.amdhsa_system_sgpr_workgroup_id_z 0
		.amdhsa_system_sgpr_workgroup_info 0
		.amdhsa_system_vgpr_workitem_id 0
		.amdhsa_next_free_vgpr 28
		.amdhsa_next_free_sgpr 8
		.amdhsa_accum_offset 28
		.amdhsa_reserve_vcc 1
		.amdhsa_reserve_flat_scratch 0
		.amdhsa_float_round_mode_32 0
		.amdhsa_float_round_mode_16_64 0
		.amdhsa_float_denorm_mode_32 3
		.amdhsa_float_denorm_mode_16_64 3
		.amdhsa_dx10_clamp 1
		.amdhsa_ieee_mode 1
		.amdhsa_fp16_overflow 0
		.amdhsa_tg_split 0
		.amdhsa_exception_fp_ieee_invalid_op 0
		.amdhsa_exception_fp_denorm_src 0
		.amdhsa_exception_fp_ieee_div_zero 0
		.amdhsa_exception_fp_ieee_overflow 0
		.amdhsa_exception_fp_ieee_underflow 0
		.amdhsa_exception_fp_ieee_inexact 0
		.amdhsa_exception_int_div_zero 0
	.end_amdhsa_kernel
	.section	.text._Z30block_run_length_decode_kernelIfiLj256ELj8ELj8EEvPKT_PKT0_PS0_,"axG",@progbits,_Z30block_run_length_decode_kernelIfiLj256ELj8ELj8EEvPKT_PKT0_PS0_,comdat
.Lfunc_end14:
	.size	_Z30block_run_length_decode_kernelIfiLj256ELj8ELj8EEvPKT_PKT0_PS0_, .Lfunc_end14-_Z30block_run_length_decode_kernelIfiLj256ELj8ELj8EEvPKT_PKT0_PS0_
                                        ; -- End function
	.section	.AMDGPU.csdata,"",@progbits
; Kernel info:
; codeLenInByte = 2600
; NumSgprs: 12
; NumVgprs: 28
; NumAgprs: 0
; TotalNumVgprs: 28
; ScratchSize: 0
; MemoryBound: 0
; FloatMode: 240
; IeeeMode: 1
; LDSByteSize: 16384 bytes/workgroup (compile time only)
; SGPRBlocks: 1
; VGPRBlocks: 3
; NumSGPRsForWavesPerEU: 12
; NumVGPRsForWavesPerEU: 28
; AccumOffset: 28
; Occupancy: 4
; WaveLimiterHint : 0
; COMPUTE_PGM_RSRC2:SCRATCH_EN: 0
; COMPUTE_PGM_RSRC2:USER_SGPR: 6
; COMPUTE_PGM_RSRC2:TRAP_HANDLER: 0
; COMPUTE_PGM_RSRC2:TGID_X_EN: 1
; COMPUTE_PGM_RSRC2:TGID_Y_EN: 0
; COMPUTE_PGM_RSRC2:TGID_Z_EN: 0
; COMPUTE_PGM_RSRC2:TIDIG_COMP_CNT: 0
; COMPUTE_PGM_RSRC3_GFX90A:ACCUM_OFFSET: 6
; COMPUTE_PGM_RSRC3_GFX90A:TG_SPLIT: 0
	.section	.text._Z30block_run_length_decode_kernelIcxLj256ELj8ELj8EEvPKT_PKT0_PS0_,"axG",@progbits,_Z30block_run_length_decode_kernelIcxLj256ELj8ELj8EEvPKT_PKT0_PS0_,comdat
	.protected	_Z30block_run_length_decode_kernelIcxLj256ELj8ELj8EEvPKT_PKT0_PS0_ ; -- Begin function _Z30block_run_length_decode_kernelIcxLj256ELj8ELj8EEvPKT_PKT0_PS0_
	.globl	_Z30block_run_length_decode_kernelIcxLj256ELj8ELj8EEvPKT_PKT0_PS0_
	.p2align	8
	.type	_Z30block_run_length_decode_kernelIcxLj256ELj8ELj8EEvPKT_PKT0_PS0_,@function
_Z30block_run_length_decode_kernelIcxLj256ELj8ELj8EEvPKT_PKT0_PS0_: ; @_Z30block_run_length_decode_kernelIcxLj256ELj8ELj8EEvPKT_PKT0_PS0_
; %bb.0:
	s_load_dwordx4 s[0:3], s[4:5], 0x0
	v_lshlrev_b32_e32 v18, 3, v0
	v_lshl_or_b32 v20, s6, 11, v18
	v_mov_b32_e32 v21, 0
	v_lshlrev_b64 v[2:3], 3, v[20:21]
	s_waitcnt lgkmcnt(0)
	v_mov_b32_e32 v1, s3
	v_add_co_u32_e32 v24, vcc, s2, v2
	v_addc_co_u32_e32 v25, vcc, v1, v3, vcc
	global_load_dwordx4 v[14:17], v[24:25], off
	global_load_dwordx4 v[10:13], v[24:25], off offset:16
	global_load_dwordx4 v[6:9], v[24:25], off offset:32
	;; [unrolled: 1-line block ×3, first 2 shown]
	global_load_dwordx2 v[22:23], v20, s[0:1]
	v_mbcnt_lo_u32_b32 v1, -1, 0
	v_mbcnt_hi_u32_b32 v1, -1, v1
	s_waitcnt vmcnt(2)
	v_and_b32_e32 v7, 15, v1
	v_cmp_ne_u32_e32 vcc, 0, v7
	v_bfe_i32 v9, v1, 4, 1
	s_waitcnt vmcnt(1)
	v_or_b32_e32 v5, 63, v0
	v_lshrrev_b32_e32 v3, 6, v0
	v_add_u32_e32 v11, v16, v14
	v_add3_u32 v11, v11, v10, v12
	v_add3_u32 v11, v11, v6, v8
	v_add3_u32 v4, v11, v2, v4
	s_nop 1
	v_mov_b32_dpp v11, v4 row_shr:1 row_mask:0xf bank_mask:0xf
	v_cndmask_b32_e32 v11, 0, v11, vcc
	v_add_u32_e32 v4, v11, v4
	v_cmp_lt_u32_e32 vcc, 1, v7
	s_nop 0
	v_mov_b32_dpp v11, v4 row_shr:2 row_mask:0xf bank_mask:0xf
	v_cndmask_b32_e32 v11, 0, v11, vcc
	v_add_u32_e32 v4, v4, v11
	v_cmp_lt_u32_e32 vcc, 3, v7
	;; [unrolled: 5-line block ×4, first 2 shown]
	s_nop 0
	v_mov_b32_dpp v7, v4 row_bcast:15 row_mask:0xf bank_mask:0xf
	v_and_b32_e32 v7, v9, v7
	v_add_u32_e32 v4, v4, v7
	s_nop 1
	v_mov_b32_dpp v7, v4 row_bcast:31 row_mask:0xf bank_mask:0xf
	v_cndmask_b32_e32 v7, 0, v7, vcc
	v_add_u32_e32 v4, v4, v7
	v_cmp_eq_u32_e32 vcc, v5, v0
	s_and_saveexec_b64 s[0:1], vcc
	s_cbranch_execz .LBB15_2
; %bb.1:
	v_lshlrev_b32_e32 v5, 2, v3
	ds_write_b32 v5, v4
.LBB15_2:
	s_or_b64 exec, exec, s[0:1]
	v_cmp_gt_u32_e32 vcc, 4, v0
	s_waitcnt lgkmcnt(0)
	s_barrier
	s_and_saveexec_b64 s[0:1], vcc
	s_cbranch_execz .LBB15_4
; %bb.3:
	v_lshlrev_b32_e32 v5, 2, v0
	ds_read_b32 v7, v5
	v_and_b32_e32 v9, 3, v1
	v_cmp_ne_u32_e32 vcc, 0, v9
	s_waitcnt lgkmcnt(0)
	v_mov_b32_dpp v11, v7 row_shr:1 row_mask:0xf bank_mask:0xf
	v_cndmask_b32_e32 v11, 0, v11, vcc
	v_add_u32_e32 v7, v11, v7
	v_cmp_lt_u32_e32 vcc, 1, v9
	s_nop 0
	v_mov_b32_dpp v11, v7 row_shr:2 row_mask:0xf bank_mask:0xf
	v_cndmask_b32_e32 v9, 0, v11, vcc
	v_add_u32_e32 v7, v7, v9
	ds_write_b32 v5, v7
.LBB15_4:
	s_or_b64 exec, exec, s[0:1]
	v_cmp_lt_u32_e32 vcc, 63, v0
	v_mov_b32_e32 v5, 0
	v_mov_b32_e32 v7, 0
	s_waitcnt lgkmcnt(0)
	s_barrier
	s_and_saveexec_b64 s[0:1], vcc
	s_cbranch_execz .LBB15_6
; %bb.5:
	v_lshl_add_u32 v3, v3, 2, -4
	ds_read_b32 v7, v3
.LBB15_6:
	s_or_b64 exec, exec, s[0:1]
	s_waitcnt lgkmcnt(0)
	v_add_u32_e32 v3, v7, v4
	v_add_u32_e32 v4, -1, v1
	v_and_b32_e32 v9, 64, v1
	v_cmp_lt_i32_e32 vcc, v4, v9
	v_cndmask_b32_e32 v4, v4, v1, vcc
	v_lshlrev_b32_e32 v4, 2, v4
	ds_bpermute_b32 v3, v4, v3
	v_cmp_eq_u32_e32 vcc, 0, v1
	ds_read_b32 v5, v5 offset:12
	v_lshlrev_b32_e32 v9, 2, v18
	s_waitcnt lgkmcnt(0)
	v_cndmask_b32_e32 v1, v3, v7, vcc
	v_cmp_ne_u32_e32 vcc, 0, v0
	v_cndmask_b32_e32 v0, 0, v1, vcc
	v_add_u32_e32 v1, v0, v14
	v_add_u32_e32 v3, v1, v16
	;; [unrolled: 1-line block ×6, first 2 shown]
	s_barrier
	ds_write2_b32 v10, v0, v1 offset1:1
	v_add_u32_e32 v0, 0x808, v9
	v_cmp_eq_u32_e32 vcc, 0, v5
	v_add_u32_e32 v8, v6, v8
	v_readfirstlane_b32 s6, v5
	ds_write2_b32 v0, v3, v4 offset1:1
	v_add_u32_e32 v0, 0x810, v9
	s_and_b64 vcc, exec, vcc
	v_add_u32_e32 v2, v8, v2
	ds_write2_b32 v0, v7, v6 offset1:1
	v_add_u32_e32 v0, 0x818, v9
	s_waitcnt vmcnt(0)
	ds_write_b64 v18, v[22:23]
	ds_write2_b32 v0, v8, v2 offset1:1
	s_waitcnt lgkmcnt(0)
	s_barrier
	s_cbranch_vccnz .LBB15_67
; %bb.7:
	s_load_dwordx2 s[0:1], s[4:5], 0x10
	v_mov_b32_e32 v0, 0
	ds_read_b32 v4, v0 offset:6144
	v_or_b32_e32 v5, 1, v20
	v_or_b32_e32 v6, 2, v20
	s_waitcnt lgkmcnt(0)
	v_mov_b32_e32 v1, s1
	v_add_co_u32_e32 v2, vcc, s0, v20
	v_addc_co_u32_e32 v3, vcc, 0, v1, vcc
	v_or_b32_e32 v7, 3, v20
	v_or_b32_e32 v8, 4, v20
	;; [unrolled: 1-line block ×5, first 2 shown]
	s_mov_b64 s[0:1], 0
	v_mov_b32_e32 v12, 0x401
	v_mov_b32_e32 v13, 0x800
	;; [unrolled: 1-line block ×5, first 2 shown]
	s_movk_i32 s7, 0x7ff
	s_mov_b32 s8, s6
	s_branch .LBB15_9
.LBB15_8:                               ;   in Loop: Header=BB15_9 Depth=1
	s_or_b64 exec, exec, s[2:3]
	s_add_u32 s0, s0, 0x800
	s_addc_u32 s1, s1, 0
	s_addk_i32 s8, 0xf800
	s_cmp_lt_u32 s0, s6
	s_cbranch_scc0 .LBB15_67
.LBB15_9:                               ; =>This Inner Loop Header: Depth=1
	v_add_co_u32_e32 v0, vcc, s0, v18
	v_cmp_gt_u32_e32 vcc, v4, v0
	v_cndmask_b32_e32 v17, v15, v16, vcc
	v_lshlrev_b32_e32 v19, 2, v17
	ds_read_b32 v19, v19 offset:2048
	v_cndmask_b32_e64 v1, v12, 0, vcc
	v_cndmask_b32_e32 v21, v13, v14, vcc
	v_or_b32_e32 v22, 1, v17
	s_waitcnt lgkmcnt(0)
	v_cmp_gt_u32_e32 vcc, v19, v0
	v_cndmask_b32_e32 v1, v22, v1, vcc
	v_cndmask_b32_e32 v17, v21, v17, vcc
	v_sub_u32_e32 v19, v17, v1
	v_lshrrev_b16_e32 v21, 15, v19
	v_add_u16_e32 v19, v19, v21
	v_ashrrev_i16_e32 v19, 1, v19
	v_add_u32_sdwa v19, v1, sext(v19) dst_sel:DWORD dst_unused:UNUSED_PAD src0_sel:DWORD src1_sel:WORD_0
	v_min_i32_e32 v19, 0x7ff, v19
	v_lshlrev_b32_e32 v21, 2, v19
	ds_read_b32 v21, v21 offset:2048
	v_add_u32_e32 v22, 1, v19
	s_waitcnt lgkmcnt(0)
	v_cmp_gt_u32_e32 vcc, v21, v0
	v_cndmask_b32_e32 v1, v22, v1, vcc
	v_cndmask_b32_e32 v17, v17, v19, vcc
	v_sub_u32_e32 v19, v17, v1
	v_lshrrev_b16_e32 v21, 15, v19
	v_add_u16_e32 v19, v19, v21
	v_ashrrev_i16_e32 v19, 1, v19
	v_add_u32_sdwa v19, v1, sext(v19) dst_sel:DWORD dst_unused:UNUSED_PAD src0_sel:DWORD src1_sel:WORD_0
	v_min_i32_e32 v19, 0x7ff, v19
	v_lshlrev_b32_e32 v21, 2, v19
	ds_read_b32 v21, v21 offset:2048
	v_add_u32_e32 v22, 1, v19
	s_waitcnt lgkmcnt(0)
	v_cmp_gt_u32_e32 vcc, v21, v0
	v_cndmask_b32_e32 v1, v22, v1, vcc
	v_cndmask_b32_e32 v17, v17, v19, vcc
	v_sub_u32_e32 v19, v17, v1
	v_lshrrev_b16_e32 v21, 15, v19
	v_add_u16_e32 v19, v19, v21
	v_ashrrev_i16_e32 v19, 1, v19
	v_add_u32_sdwa v19, v1, sext(v19) dst_sel:DWORD dst_unused:UNUSED_PAD src0_sel:DWORD src1_sel:WORD_0
	v_min_i32_e32 v19, 0x7ff, v19
	v_lshlrev_b32_e32 v21, 2, v19
	ds_read_b32 v21, v21 offset:2048
	v_add_u32_e32 v22, 1, v19
	s_waitcnt lgkmcnt(0)
	v_cmp_gt_u32_e32 vcc, v21, v0
	v_cndmask_b32_e32 v1, v22, v1, vcc
	v_cndmask_b32_e32 v17, v17, v19, vcc
	v_sub_u32_e32 v19, v17, v1
	v_lshrrev_b16_e32 v21, 15, v19
	v_add_u16_e32 v19, v19, v21
	v_ashrrev_i16_e32 v19, 1, v19
	v_add_u32_sdwa v19, v1, sext(v19) dst_sel:DWORD dst_unused:UNUSED_PAD src0_sel:DWORD src1_sel:WORD_0
	v_min_i32_e32 v19, 0x7ff, v19
	v_lshlrev_b32_e32 v21, 2, v19
	ds_read_b32 v21, v21 offset:2048
	v_add_u32_e32 v22, 1, v19
	s_waitcnt lgkmcnt(0)
	v_cmp_gt_u32_e32 vcc, v21, v0
	v_cndmask_b32_e32 v1, v22, v1, vcc
	v_cndmask_b32_e32 v17, v17, v19, vcc
	v_sub_u32_e32 v19, v17, v1
	v_lshrrev_b16_e32 v21, 15, v19
	v_add_u16_e32 v19, v19, v21
	v_ashrrev_i16_e32 v19, 1, v19
	v_add_u32_sdwa v19, v1, sext(v19) dst_sel:DWORD dst_unused:UNUSED_PAD src0_sel:DWORD src1_sel:WORD_0
	v_min_i32_e32 v19, 0x7ff, v19
	v_lshlrev_b32_e32 v21, 2, v19
	ds_read_b32 v21, v21 offset:2048
	v_add_u32_e32 v22, 1, v19
	s_waitcnt lgkmcnt(0)
	v_cmp_gt_u32_e32 vcc, v21, v0
	v_cndmask_b32_e32 v1, v22, v1, vcc
	v_cndmask_b32_e32 v17, v17, v19, vcc
	v_sub_u32_e32 v19, v17, v1
	v_lshrrev_b16_e32 v21, 15, v19
	v_add_u16_e32 v19, v19, v21
	v_ashrrev_i16_e32 v19, 1, v19
	v_add_u32_sdwa v19, v1, sext(v19) dst_sel:DWORD dst_unused:UNUSED_PAD src0_sel:DWORD src1_sel:WORD_0
	v_min_i32_e32 v19, 0x7ff, v19
	v_lshlrev_b32_e32 v21, 2, v19
	ds_read_b32 v21, v21 offset:2048
	v_add_u32_e32 v22, 1, v19
	s_waitcnt lgkmcnt(0)
	v_cmp_gt_u32_e32 vcc, v21, v0
	v_cndmask_b32_e32 v1, v22, v1, vcc
	v_cndmask_b32_e32 v17, v17, v19, vcc
	v_sub_u32_e32 v19, v17, v1
	v_lshrrev_b16_e32 v21, 15, v19
	v_add_u16_e32 v19, v19, v21
	v_ashrrev_i16_e32 v19, 1, v19
	v_add_u32_sdwa v19, v1, sext(v19) dst_sel:DWORD dst_unused:UNUSED_PAD src0_sel:DWORD src1_sel:WORD_0
	v_min_i32_e32 v19, 0x7ff, v19
	v_lshlrev_b32_e32 v21, 2, v19
	ds_read_b32 v21, v21 offset:2048
	v_add_u32_e32 v22, 1, v19
	s_waitcnt lgkmcnt(0)
	v_cmp_gt_u32_e32 vcc, v21, v0
	v_cndmask_b32_e32 v1, v22, v1, vcc
	v_cndmask_b32_e32 v17, v17, v19, vcc
	v_sub_u32_e32 v19, v17, v1
	v_lshrrev_b16_e32 v21, 15, v19
	v_add_u16_e32 v19, v19, v21
	v_ashrrev_i16_e32 v19, 1, v19
	v_add_u32_sdwa v19, v1, sext(v19) dst_sel:DWORD dst_unused:UNUSED_PAD src0_sel:DWORD src1_sel:WORD_0
	v_min_i32_e32 v19, 0x7ff, v19
	v_lshlrev_b32_e32 v21, 2, v19
	ds_read_b32 v21, v21 offset:2048
	v_add_u32_e32 v22, 1, v19
	s_waitcnt lgkmcnt(0)
	v_cmp_gt_u32_e32 vcc, v21, v0
	v_cndmask_b32_e32 v1, v22, v1, vcc
	v_cndmask_b32_e32 v17, v17, v19, vcc
	v_sub_u32_e32 v19, v17, v1
	v_lshrrev_b32_e32 v21, 31, v19
	v_add_u32_e32 v19, v19, v21
	v_ashrrev_i32_e32 v19, 1, v19
	v_add_u32_e32 v19, v19, v1
	v_min_i32_e32 v19, 0x7ff, v19
	v_lshlrev_b32_e32 v21, 2, v19
	ds_read_b32 v21, v21 offset:2048
	v_add_u32_e32 v22, 1, v19
	s_waitcnt lgkmcnt(0)
	v_cmp_gt_u32_e32 vcc, v21, v0
	v_cndmask_b32_e32 v1, v22, v1, vcc
	v_cndmask_b32_e32 v17, v17, v19, vcc
	v_sub_u32_e32 v17, v17, v1
	v_lshrrev_b32_e32 v19, 31, v17
	v_add_u32_e32 v17, v17, v19
	v_ashrrev_i32_e32 v17, 1, v17
	v_add_u32_e32 v17, v17, v1
	v_min_i32_e32 v17, 0x7ff, v17
	v_lshlrev_b32_e32 v19, 2, v17
	ds_read_b32 v19, v19 offset:2048
	v_add_u32_e32 v17, 1, v17
	s_waitcnt lgkmcnt(0)
	v_cmp_gt_u32_e32 vcc, v19, v0
	v_cndmask_b32_e32 v21, v17, v1, vcc
	v_add_u32_e32 v1, -1, v21
	v_cmp_ne_u32_e32 vcc, s7, v1
                                        ; implicit-def: $vgpr19
	s_and_saveexec_b64 s[2:3], vcc
	s_xor_b64 s[2:3], exec, s[2:3]
	s_cbranch_execz .LBB15_11
; %bb.10:                               ;   in Loop: Header=BB15_9 Depth=1
	v_lshlrev_b32_e32 v17, 2, v21
	ds_read_b32 v19, v17 offset:2048
.LBB15_11:                              ;   in Loop: Header=BB15_9 Depth=1
	s_andn2_saveexec_b64 s[2:3], s[2:3]
	s_cbranch_execz .LBB15_13
; %bb.12:                               ;   in Loop: Header=BB15_9 Depth=1
	s_waitcnt lgkmcnt(0)
	v_add_u32_e32 v19, 8, v0
.LBB15_13:                              ;   in Loop: Header=BB15_9 Depth=1
	s_or_b64 exec, exec, s[2:3]
	ds_read_u8 v17, v1
	s_waitcnt lgkmcnt(1)
	v_add_u32_e32 v25, -1, v19
	v_cmp_eq_u32_e32 vcc, v0, v25
	s_waitcnt lgkmcnt(0)
	v_mov_b32_e32 v19, v17
	s_and_saveexec_b64 s[2:3], vcc
	s_cbranch_execz .LBB15_19
; %bb.14:                               ;   in Loop: Header=BB15_9 Depth=1
	v_cmp_ne_u32_e32 vcc, s7, v21
                                        ; implicit-def: $vgpr1
	s_and_saveexec_b64 s[4:5], vcc
	s_xor_b64 s[4:5], exec, s[4:5]
	s_cbranch_execz .LBB15_16
; %bb.15:                               ;   in Loop: Header=BB15_9 Depth=1
	v_lshlrev_b32_e32 v1, 2, v21
	ds_read_b32 v1, v1 offset:2052
.LBB15_16:                              ;   in Loop: Header=BB15_9 Depth=1
	s_andn2_saveexec_b64 s[4:5], s[4:5]
	s_cbranch_execz .LBB15_18
; %bb.17:                               ;   in Loop: Header=BB15_9 Depth=1
	s_waitcnt lgkmcnt(0)
	v_add_u32_e32 v1, 8, v0
.LBB15_18:                              ;   in Loop: Header=BB15_9 Depth=1
	s_or_b64 exec, exec, s[4:5]
	ds_read_u8 v19, v21
	s_waitcnt lgkmcnt(1)
	v_add_u32_e32 v25, -1, v1
	v_mov_b32_e32 v1, v21
.LBB15_19:                              ;   in Loop: Header=BB15_9 Depth=1
	s_or_b64 exec, exec, s[2:3]
	v_add_u32_e32 v21, 1, v0
	v_cmp_eq_u32_e32 vcc, v21, v25
	s_waitcnt lgkmcnt(0)
	v_mov_b32_e32 v21, v19
	s_and_saveexec_b64 s[2:3], vcc
	s_cbranch_execz .LBB15_25
; %bb.20:                               ;   in Loop: Header=BB15_9 Depth=1
	v_add_u32_e32 v22, 1, v1
	v_cmp_ne_u32_e32 vcc, s7, v22
                                        ; implicit-def: $vgpr23
	s_and_saveexec_b64 s[4:5], vcc
	s_xor_b64 s[4:5], exec, s[4:5]
	s_cbranch_execz .LBB15_22
; %bb.21:                               ;   in Loop: Header=BB15_9 Depth=1
	v_lshlrev_b32_e32 v1, 2, v1
	ds_read_b32 v23, v1 offset:2056
.LBB15_22:                              ;   in Loop: Header=BB15_9 Depth=1
	s_andn2_saveexec_b64 s[4:5], s[4:5]
	s_cbranch_execz .LBB15_24
; %bb.23:                               ;   in Loop: Header=BB15_9 Depth=1
	s_waitcnt lgkmcnt(0)
	v_add_u32_e32 v23, 9, v0
.LBB15_24:                              ;   in Loop: Header=BB15_9 Depth=1
	s_or_b64 exec, exec, s[4:5]
	ds_read_u8 v21, v22
	s_waitcnt lgkmcnt(1)
	v_add_u32_e32 v25, -1, v23
	v_mov_b32_e32 v1, v22
.LBB15_25:                              ;   in Loop: Header=BB15_9 Depth=1
	s_or_b64 exec, exec, s[2:3]
	v_add_u32_e32 v22, 2, v0
	v_cmp_eq_u32_e32 vcc, v22, v25
	s_waitcnt lgkmcnt(0)
	v_mov_b32_e32 v22, v21
	s_and_saveexec_b64 s[2:3], vcc
	s_cbranch_execz .LBB15_31
; %bb.26:                               ;   in Loop: Header=BB15_9 Depth=1
	v_add_u32_e32 v23, 1, v1
	v_cmp_ne_u32_e32 vcc, s7, v23
                                        ; implicit-def: $vgpr24
	s_and_saveexec_b64 s[4:5], vcc
	s_xor_b64 s[4:5], exec, s[4:5]
	s_cbranch_execz .LBB15_28
; %bb.27:                               ;   in Loop: Header=BB15_9 Depth=1
	v_lshlrev_b32_e32 v1, 2, v1
	ds_read_b32 v24, v1 offset:2056
.LBB15_28:                              ;   in Loop: Header=BB15_9 Depth=1
	s_andn2_saveexec_b64 s[4:5], s[4:5]
	s_cbranch_execz .LBB15_30
; %bb.29:                               ;   in Loop: Header=BB15_9 Depth=1
	s_waitcnt lgkmcnt(0)
	v_add_u32_e32 v24, 10, v0
.LBB15_30:                              ;   in Loop: Header=BB15_9 Depth=1
	s_or_b64 exec, exec, s[4:5]
	ds_read_u8 v22, v23
	s_waitcnt lgkmcnt(1)
	v_add_u32_e32 v25, -1, v24
	v_mov_b32_e32 v1, v23
.LBB15_31:                              ;   in Loop: Header=BB15_9 Depth=1
	s_or_b64 exec, exec, s[2:3]
	v_add_u32_e32 v23, 3, v0
	v_cmp_eq_u32_e32 vcc, v23, v25
	s_waitcnt lgkmcnt(0)
	v_mov_b32_e32 v23, v22
	s_and_saveexec_b64 s[2:3], vcc
	s_cbranch_execz .LBB15_37
; %bb.32:                               ;   in Loop: Header=BB15_9 Depth=1
	v_add_u32_e32 v24, 1, v1
	v_cmp_ne_u32_e32 vcc, s7, v24
                                        ; implicit-def: $vgpr25
	s_and_saveexec_b64 s[4:5], vcc
	s_xor_b64 s[4:5], exec, s[4:5]
	s_cbranch_execz .LBB15_34
; %bb.33:                               ;   in Loop: Header=BB15_9 Depth=1
	v_lshlrev_b32_e32 v1, 2, v1
	ds_read_b32 v25, v1 offset:2056
.LBB15_34:                              ;   in Loop: Header=BB15_9 Depth=1
	s_andn2_saveexec_b64 s[4:5], s[4:5]
	s_cbranch_execz .LBB15_36
; %bb.35:                               ;   in Loop: Header=BB15_9 Depth=1
	s_waitcnt lgkmcnt(0)
	v_add_u32_e32 v25, 11, v0
.LBB15_36:                              ;   in Loop: Header=BB15_9 Depth=1
	s_or_b64 exec, exec, s[4:5]
	ds_read_u8 v23, v24
	s_waitcnt lgkmcnt(1)
	v_add_u32_e32 v25, -1, v25
	v_mov_b32_e32 v1, v24
.LBB15_37:                              ;   in Loop: Header=BB15_9 Depth=1
	s_or_b64 exec, exec, s[2:3]
	v_add_u32_e32 v24, 4, v0
	v_cmp_eq_u32_e32 vcc, v24, v25
	s_waitcnt lgkmcnt(0)
	v_mov_b32_e32 v24, v23
	s_and_saveexec_b64 s[2:3], vcc
	s_cbranch_execz .LBB15_43
; %bb.38:                               ;   in Loop: Header=BB15_9 Depth=1
	v_add_u32_e32 v26, 1, v1
	v_cmp_ne_u32_e32 vcc, s7, v26
                                        ; implicit-def: $vgpr25
	s_and_saveexec_b64 s[4:5], vcc
	s_xor_b64 s[4:5], exec, s[4:5]
	s_cbranch_execz .LBB15_40
; %bb.39:                               ;   in Loop: Header=BB15_9 Depth=1
	v_lshlrev_b32_e32 v1, 2, v1
	ds_read_b32 v25, v1 offset:2056
.LBB15_40:                              ;   in Loop: Header=BB15_9 Depth=1
	s_andn2_saveexec_b64 s[4:5], s[4:5]
	s_cbranch_execz .LBB15_42
; %bb.41:                               ;   in Loop: Header=BB15_9 Depth=1
	s_waitcnt lgkmcnt(0)
	v_add_u32_e32 v25, 12, v0
.LBB15_42:                              ;   in Loop: Header=BB15_9 Depth=1
	s_or_b64 exec, exec, s[4:5]
	ds_read_u8 v24, v26
	s_waitcnt lgkmcnt(1)
	v_add_u32_e32 v25, -1, v25
	v_mov_b32_e32 v1, v26
.LBB15_43:                              ;   in Loop: Header=BB15_9 Depth=1
	;; [unrolled: 30-line block ×3, first 2 shown]
	s_or_b64 exec, exec, s[2:3]
	v_add_u32_e32 v0, 6, v0
	v_cmp_eq_u32_e32 vcc, v0, v25
	s_waitcnt lgkmcnt(0)
	v_mov_b32_e32 v25, v26
	s_and_saveexec_b64 s[2:3], vcc
	s_cbranch_execz .LBB15_51
; %bb.50:                               ;   in Loop: Header=BB15_9 Depth=1
	ds_read_u8 v25, v1 offset:1
.LBB15_51:                              ;   in Loop: Header=BB15_9 Depth=1
	s_or_b64 exec, exec, s[2:3]
	v_mov_b32_e32 v1, s1
	v_add_co_u32_e32 v0, vcc, s0, v2
	s_min_u32 s4, s8, 0x800
	v_addc_co_u32_e32 v1, vcc, v3, v1, vcc
	v_cmp_gt_u32_e32 vcc, s4, v20
	s_and_saveexec_b64 s[2:3], vcc
	s_cbranch_execnz .LBB15_59
; %bb.52:                               ;   in Loop: Header=BB15_9 Depth=1
	s_or_b64 exec, exec, s[2:3]
	v_cmp_gt_u32_e32 vcc, s4, v5
	s_and_saveexec_b64 s[2:3], vcc
	s_cbranch_execnz .LBB15_60
.LBB15_53:                              ;   in Loop: Header=BB15_9 Depth=1
	s_or_b64 exec, exec, s[2:3]
	v_cmp_gt_u32_e32 vcc, s4, v6
	s_and_saveexec_b64 s[2:3], vcc
	s_cbranch_execnz .LBB15_61
.LBB15_54:                              ;   in Loop: Header=BB15_9 Depth=1
	s_or_b64 exec, exec, s[2:3]
	v_cmp_gt_u32_e32 vcc, s4, v7
	s_and_saveexec_b64 s[2:3], vcc
	s_cbranch_execnz .LBB15_62
.LBB15_55:                              ;   in Loop: Header=BB15_9 Depth=1
	s_or_b64 exec, exec, s[2:3]
	v_cmp_gt_u32_e32 vcc, s4, v8
	s_and_saveexec_b64 s[2:3], vcc
	s_cbranch_execnz .LBB15_63
.LBB15_56:                              ;   in Loop: Header=BB15_9 Depth=1
	s_or_b64 exec, exec, s[2:3]
	v_cmp_gt_u32_e32 vcc, s4, v9
	s_and_saveexec_b64 s[2:3], vcc
	s_cbranch_execnz .LBB15_64
.LBB15_57:                              ;   in Loop: Header=BB15_9 Depth=1
	s_or_b64 exec, exec, s[2:3]
	v_cmp_gt_u32_e32 vcc, s4, v10
	s_and_saveexec_b64 s[2:3], vcc
	s_cbranch_execnz .LBB15_65
.LBB15_58:                              ;   in Loop: Header=BB15_9 Depth=1
	s_or_b64 exec, exec, s[2:3]
	v_cmp_gt_u32_e32 vcc, s4, v11
	s_and_saveexec_b64 s[2:3], vcc
	s_cbranch_execz .LBB15_8
	s_branch .LBB15_66
.LBB15_59:                              ;   in Loop: Header=BB15_9 Depth=1
	global_store_byte v[0:1], v17, off
	s_or_b64 exec, exec, s[2:3]
	v_cmp_gt_u32_e32 vcc, s4, v5
	s_and_saveexec_b64 s[2:3], vcc
	s_cbranch_execz .LBB15_53
.LBB15_60:                              ;   in Loop: Header=BB15_9 Depth=1
	global_store_byte v[0:1], v19, off offset:1
	s_or_b64 exec, exec, s[2:3]
	v_cmp_gt_u32_e32 vcc, s4, v6
	s_and_saveexec_b64 s[2:3], vcc
	s_cbranch_execz .LBB15_54
.LBB15_61:                              ;   in Loop: Header=BB15_9 Depth=1
	global_store_byte v[0:1], v21, off offset:2
	s_or_b64 exec, exec, s[2:3]
	v_cmp_gt_u32_e32 vcc, s4, v7
	s_and_saveexec_b64 s[2:3], vcc
	s_cbranch_execz .LBB15_55
.LBB15_62:                              ;   in Loop: Header=BB15_9 Depth=1
	global_store_byte v[0:1], v22, off offset:3
	s_or_b64 exec, exec, s[2:3]
	v_cmp_gt_u32_e32 vcc, s4, v8
	s_and_saveexec_b64 s[2:3], vcc
	s_cbranch_execz .LBB15_56
.LBB15_63:                              ;   in Loop: Header=BB15_9 Depth=1
	global_store_byte v[0:1], v23, off offset:4
	s_or_b64 exec, exec, s[2:3]
	v_cmp_gt_u32_e32 vcc, s4, v9
	s_and_saveexec_b64 s[2:3], vcc
	s_cbranch_execz .LBB15_57
.LBB15_64:                              ;   in Loop: Header=BB15_9 Depth=1
	global_store_byte v[0:1], v24, off offset:5
	s_or_b64 exec, exec, s[2:3]
	v_cmp_gt_u32_e32 vcc, s4, v10
	s_and_saveexec_b64 s[2:3], vcc
	s_cbranch_execz .LBB15_58
.LBB15_65:                              ;   in Loop: Header=BB15_9 Depth=1
	global_store_byte v[0:1], v26, off offset:6
	s_or_b64 exec, exec, s[2:3]
	v_cmp_gt_u32_e32 vcc, s4, v11
	s_and_saveexec_b64 s[2:3], vcc
	s_cbranch_execz .LBB15_8
.LBB15_66:                              ;   in Loop: Header=BB15_9 Depth=1
	s_waitcnt lgkmcnt(0)
	global_store_byte v[0:1], v25, off offset:7
	s_branch .LBB15_8
.LBB15_67:
	s_endpgm
	.section	.rodata,"a",@progbits
	.p2align	6, 0x0
	.amdhsa_kernel _Z30block_run_length_decode_kernelIcxLj256ELj8ELj8EEvPKT_PKT0_PS0_
		.amdhsa_group_segment_fixed_size 10240
		.amdhsa_private_segment_fixed_size 0
		.amdhsa_kernarg_size 24
		.amdhsa_user_sgpr_count 6
		.amdhsa_user_sgpr_private_segment_buffer 1
		.amdhsa_user_sgpr_dispatch_ptr 0
		.amdhsa_user_sgpr_queue_ptr 0
		.amdhsa_user_sgpr_kernarg_segment_ptr 1
		.amdhsa_user_sgpr_dispatch_id 0
		.amdhsa_user_sgpr_flat_scratch_init 0
		.amdhsa_user_sgpr_kernarg_preload_length 0
		.amdhsa_user_sgpr_kernarg_preload_offset 0
		.amdhsa_user_sgpr_private_segment_size 0
		.amdhsa_uses_dynamic_stack 0
		.amdhsa_system_sgpr_private_segment_wavefront_offset 0
		.amdhsa_system_sgpr_workgroup_id_x 1
		.amdhsa_system_sgpr_workgroup_id_y 0
		.amdhsa_system_sgpr_workgroup_id_z 0
		.amdhsa_system_sgpr_workgroup_info 0
		.amdhsa_system_vgpr_workitem_id 0
		.amdhsa_next_free_vgpr 28
		.amdhsa_next_free_sgpr 9
		.amdhsa_accum_offset 28
		.amdhsa_reserve_vcc 1
		.amdhsa_reserve_flat_scratch 0
		.amdhsa_float_round_mode_32 0
		.amdhsa_float_round_mode_16_64 0
		.amdhsa_float_denorm_mode_32 3
		.amdhsa_float_denorm_mode_16_64 3
		.amdhsa_dx10_clamp 1
		.amdhsa_ieee_mode 1
		.amdhsa_fp16_overflow 0
		.amdhsa_tg_split 0
		.amdhsa_exception_fp_ieee_invalid_op 0
		.amdhsa_exception_fp_denorm_src 0
		.amdhsa_exception_fp_ieee_div_zero 0
		.amdhsa_exception_fp_ieee_overflow 0
		.amdhsa_exception_fp_ieee_underflow 0
		.amdhsa_exception_fp_ieee_inexact 0
		.amdhsa_exception_int_div_zero 0
	.end_amdhsa_kernel
	.section	.text._Z30block_run_length_decode_kernelIcxLj256ELj8ELj8EEvPKT_PKT0_PS0_,"axG",@progbits,_Z30block_run_length_decode_kernelIcxLj256ELj8ELj8EEvPKT_PKT0_PS0_,comdat
.Lfunc_end15:
	.size	_Z30block_run_length_decode_kernelIcxLj256ELj8ELj8EEvPKT_PKT0_PS0_, .Lfunc_end15-_Z30block_run_length_decode_kernelIcxLj256ELj8ELj8EEvPKT_PKT0_PS0_
                                        ; -- End function
	.section	.AMDGPU.csdata,"",@progbits
; Kernel info:
; codeLenInByte = 2536
; NumSgprs: 13
; NumVgprs: 28
; NumAgprs: 0
; TotalNumVgprs: 28
; ScratchSize: 0
; MemoryBound: 0
; FloatMode: 240
; IeeeMode: 1
; LDSByteSize: 10240 bytes/workgroup (compile time only)
; SGPRBlocks: 1
; VGPRBlocks: 3
; NumSGPRsForWavesPerEU: 13
; NumVGPRsForWavesPerEU: 28
; AccumOffset: 28
; Occupancy: 6
; WaveLimiterHint : 0
; COMPUTE_PGM_RSRC2:SCRATCH_EN: 0
; COMPUTE_PGM_RSRC2:USER_SGPR: 6
; COMPUTE_PGM_RSRC2:TRAP_HANDLER: 0
; COMPUTE_PGM_RSRC2:TGID_X_EN: 1
; COMPUTE_PGM_RSRC2:TGID_Y_EN: 0
; COMPUTE_PGM_RSRC2:TGID_Z_EN: 0
; COMPUTE_PGM_RSRC2:TIDIG_COMP_CNT: 0
; COMPUTE_PGM_RSRC3_GFX90A:ACCUM_OFFSET: 6
; COMPUTE_PGM_RSRC3_GFX90A:TG_SPLIT: 0
	.section	.text._Z30block_run_length_decode_kernelIdcLj256ELj8ELj8EEvPKT_PKT0_PS0_,"axG",@progbits,_Z30block_run_length_decode_kernelIdcLj256ELj8ELj8EEvPKT_PKT0_PS0_,comdat
	.protected	_Z30block_run_length_decode_kernelIdcLj256ELj8ELj8EEvPKT_PKT0_PS0_ ; -- Begin function _Z30block_run_length_decode_kernelIdcLj256ELj8ELj8EEvPKT_PKT0_PS0_
	.globl	_Z30block_run_length_decode_kernelIdcLj256ELj8ELj8EEvPKT_PKT0_PS0_
	.p2align	8
	.type	_Z30block_run_length_decode_kernelIdcLj256ELj8ELj8EEvPKT_PKT0_PS0_,@function
_Z30block_run_length_decode_kernelIdcLj256ELj8ELj8EEvPKT_PKT0_PS0_: ; @_Z30block_run_length_decode_kernelIdcLj256ELj8ELj8EEvPKT_PKT0_PS0_
; %bb.0:
	s_load_dwordx4 s[0:3], s[4:5], 0x0
	v_lshlrev_b32_e32 v24, 3, v0
	v_lshl_or_b32 v18, s6, 11, v24
	v_mov_b32_e32 v19, 0
	v_lshlrev_b64 v[20:21], 3, v[18:19]
	s_waitcnt lgkmcnt(0)
	global_load_dwordx2 v[22:23], v18, s[2:3]
	v_mov_b32_e32 v1, s1
	v_add_co_u32_e32 v26, vcc, s0, v20
	v_addc_co_u32_e32 v27, vcc, v1, v21, vcc
	global_load_dwordx4 v[2:5], v[26:27], off offset:48
	global_load_dwordx4 v[6:9], v[26:27], off offset:32
	;; [unrolled: 1-line block ×3, first 2 shown]
	global_load_dwordx4 v[14:17], v[26:27], off
	v_mbcnt_lo_u32_b32 v1, -1, 0
	v_mbcnt_hi_u32_b32 v1, -1, v1
	v_and_b32_e32 v31, 15, v1
	v_cmp_ne_u32_e32 vcc, 0, v31
	v_bfe_i32 v32, v1, 4, 1
	v_or_b32_e32 v30, 63, v0
	v_lshrrev_b32_e32 v29, 6, v0
	s_waitcnt vmcnt(4)
	v_bfe_i32 v28, v22, 16, 8
	v_ashrrev_i32_e32 v19, 24, v22
	v_add_u32_sdwa v33, sext(v22), sext(v22) dst_sel:DWORD dst_unused:UNUSED_PAD src0_sel:BYTE_1 src1_sel:BYTE_0
	v_bfe_i32 v25, v23, 0, 8
	v_bfe_i32 v26, v23, 8, 8
	v_add3_u32 v33, v33, v28, v19
	v_bfe_i32 v27, v23, 16, 8
	v_ashrrev_i32_e32 v23, 24, v23
	v_add3_u32 v33, v33, v25, v26
	v_add3_u32 v23, v33, v27, v23
	s_nop 1
	v_mov_b32_dpp v33, v23 row_shr:1 row_mask:0xf bank_mask:0xf
	v_cndmask_b32_e32 v33, 0, v33, vcc
	v_add_u32_e32 v23, v33, v23
	v_cmp_lt_u32_e32 vcc, 1, v31
	s_nop 0
	v_mov_b32_dpp v33, v23 row_shr:2 row_mask:0xf bank_mask:0xf
	v_cndmask_b32_e32 v33, 0, v33, vcc
	v_add_u32_e32 v23, v23, v33
	v_cmp_lt_u32_e32 vcc, 3, v31
	;; [unrolled: 5-line block ×4, first 2 shown]
	s_nop 0
	v_mov_b32_dpp v31, v23 row_bcast:15 row_mask:0xf bank_mask:0xf
	v_and_b32_e32 v31, v32, v31
	v_add_u32_e32 v23, v23, v31
	s_nop 1
	v_mov_b32_dpp v31, v23 row_bcast:31 row_mask:0xf bank_mask:0xf
	v_cndmask_b32_e32 v31, 0, v31, vcc
	v_add_u32_e32 v23, v23, v31
	v_cmp_eq_u32_e32 vcc, v30, v0
	s_and_saveexec_b64 s[0:1], vcc
	s_cbranch_execz .LBB16_2
; %bb.1:
	v_lshlrev_b32_e32 v30, 2, v29
	ds_write_b32 v30, v23
.LBB16_2:
	s_or_b64 exec, exec, s[0:1]
	v_cmp_gt_u32_e32 vcc, 4, v0
	s_waitcnt lgkmcnt(0)
	s_barrier
	s_and_saveexec_b64 s[0:1], vcc
	s_cbranch_execz .LBB16_4
; %bb.3:
	v_lshlrev_b32_e32 v30, 2, v0
	ds_read_b32 v31, v30
	v_and_b32_e32 v32, 3, v1
	v_cmp_ne_u32_e32 vcc, 0, v32
	s_waitcnt lgkmcnt(0)
	v_mov_b32_dpp v33, v31 row_shr:1 row_mask:0xf bank_mask:0xf
	v_cndmask_b32_e32 v33, 0, v33, vcc
	v_add_u32_e32 v31, v33, v31
	v_cmp_lt_u32_e32 vcc, 1, v32
	s_nop 0
	v_mov_b32_dpp v33, v31 row_shr:2 row_mask:0xf bank_mask:0xf
	v_cndmask_b32_e32 v32, 0, v33, vcc
	v_add_u32_e32 v31, v31, v32
	ds_write_b32 v30, v31
.LBB16_4:
	s_or_b64 exec, exec, s[0:1]
	v_cmp_lt_u32_e32 vcc, 63, v0
	v_mov_b32_e32 v30, 0
	v_mov_b32_e32 v31, 0
	s_waitcnt lgkmcnt(0)
	s_barrier
	s_and_saveexec_b64 s[0:1], vcc
	s_cbranch_execz .LBB16_6
; %bb.5:
	v_lshl_add_u32 v29, v29, 2, -4
	ds_read_b32 v31, v29
.LBB16_6:
	s_or_b64 exec, exec, s[0:1]
	v_add_u32_e32 v29, -1, v1
	v_and_b32_e32 v32, 64, v1
	v_cmp_lt_i32_e32 vcc, v29, v32
	v_cndmask_b32_e32 v29, v29, v1, vcc
	s_waitcnt lgkmcnt(0)
	v_add_u32_e32 v23, v31, v23
	v_lshlrev_b32_e32 v29, 2, v29
	ds_bpermute_b32 v23, v29, v23
	v_cmp_eq_u32_e32 vcc, 0, v1
	v_lshlrev_b32_e32 v29, 3, v24
	s_mov_b32 s6, 0
	s_waitcnt lgkmcnt(0)
	v_cndmask_b32_e32 v1, v23, v31, vcc
	v_cmp_ne_u32_e32 vcc, 0, v0
	v_cndmask_b32_e32 v0, 0, v1, vcc
	v_add_u32_sdwa v1, v0, sext(v22) dst_sel:DWORD dst_unused:UNUSED_PAD src0_sel:DWORD src1_sel:BYTE_0
	v_add_u32_sdwa v22, v1, sext(v22) dst_sel:DWORD dst_unused:UNUSED_PAD src0_sel:DWORD src1_sel:BYTE_1
	v_add_u32_e32 v23, v22, v28
	ds_read_b32 v28, v30 offset:12
	v_add_u32_e32 v19, v23, v19
	v_add_u32_e32 v25, v19, v25
	v_lshlrev_b32_e32 v30, 2, v24
	v_add_u32_e32 v26, v25, v26
	s_waitcnt lgkmcnt(0)
	v_cmp_eq_u32_e32 vcc, 0, v28
	v_readfirstlane_b32 s7, v28
	s_barrier
	v_or_b32_e32 v31, 0x4000, v30
	s_waitcnt vmcnt(0)
	ds_write2_b64 v29, v[14:15], v[16:17] offset1:1
	ds_write2_b32 v31, v0, v1 offset1:1
	v_add_u32_e32 v0, 0x4008, v30
	s_and_b64 vcc, exec, vcc
	v_add_u32_e32 v27, v26, v27
	ds_write2_b64 v29, v[10:11], v[12:13] offset0:2 offset1:3
	ds_write2_b32 v0, v22, v23 offset1:1
	v_add_u32_e32 v0, 0x4010, v30
	ds_write2_b64 v29, v[6:7], v[8:9] offset0:4 offset1:5
	ds_write2_b32 v0, v19, v25 offset1:1
	ds_write_b32 v30, v26 offset:16408
	ds_write2_b64 v29, v[2:3], v[4:5] offset0:6 offset1:7
	ds_write_b32 v30, v27 offset:16412
	s_waitcnt lgkmcnt(0)
	s_barrier
	s_cbranch_vccnz .LBB16_67
; %bb.7:
	s_load_dwordx2 s[0:1], s[4:5], 0x10
	v_mov_b32_e32 v0, 0
	ds_read_b32 v19, v0 offset:20480
	v_or_b32_e32 v22, 1, v18
	v_or_b32_e32 v23, 2, v18
	s_waitcnt lgkmcnt(0)
	v_mov_b32_e32 v0, s1
	v_add_co_u32_e32 v1, vcc, s0, v20
	v_addc_co_u32_e32 v2, vcc, v21, v0, vcc
	v_add_co_u32_e32 v0, vcc, 56, v1
	v_or_b32_e32 v25, 3, v18
	v_or_b32_e32 v26, 4, v18
	;; [unrolled: 1-line block ×5, first 2 shown]
	v_addc_co_u32_e32 v1, vcc, 0, v2, vcc
	v_mov_b32_e32 v20, 0x401
	v_mov_b32_e32 v21, 0x800
	;; [unrolled: 1-line block ×5, first 2 shown]
	s_movk_i32 s4, 0x7ff
	s_mov_b32 s5, s7
	s_branch .LBB16_9
.LBB16_8:                               ;   in Loop: Header=BB16_9 Depth=1
	s_or_b64 exec, exec, s[0:1]
	s_addk_i32 s6, 0x800
	s_addk_i32 s5, 0xf800
	v_add_co_u32_e32 v0, vcc, 0x4000, v0
	s_cmp_lt_u32 s6, s7
	v_addc_co_u32_e32 v1, vcc, 0, v1, vcc
	s_cbranch_scc0 .LBB16_67
.LBB16_9:                               ; =>This Inner Loop Header: Depth=1
	s_waitcnt lgkmcnt(0)
	v_add_u32_e32 v16, s6, v24
	v_cmp_gt_u32_e32 vcc, v19, v16
	v_cndmask_b32_e32 v3, v31, v32, vcc
	v_lshlrev_b32_e32 v4, 2, v3
	ds_read_b32 v4, v4 offset:16384
	v_cndmask_b32_e64 v2, v20, 0, vcc
	v_cndmask_b32_e32 v5, v21, v30, vcc
	v_or_b32_e32 v6, 1, v3
	s_waitcnt lgkmcnt(0)
	v_cmp_gt_u32_e32 vcc, v4, v16
	v_cndmask_b32_e32 v2, v6, v2, vcc
	v_cndmask_b32_e32 v3, v5, v3, vcc
	v_sub_u32_e32 v4, v3, v2
	v_lshrrev_b16_e32 v5, 15, v4
	v_add_u16_e32 v4, v4, v5
	v_ashrrev_i16_e32 v4, 1, v4
	v_add_u32_sdwa v4, v2, sext(v4) dst_sel:DWORD dst_unused:UNUSED_PAD src0_sel:DWORD src1_sel:WORD_0
	v_min_i32_e32 v4, 0x7ff, v4
	v_lshlrev_b32_e32 v5, 2, v4
	ds_read_b32 v5, v5 offset:16384
	v_add_u32_e32 v6, 1, v4
	s_waitcnt lgkmcnt(0)
	v_cmp_gt_u32_e32 vcc, v5, v16
	v_cndmask_b32_e32 v2, v6, v2, vcc
	v_cndmask_b32_e32 v3, v3, v4, vcc
	v_sub_u32_e32 v4, v3, v2
	v_lshrrev_b16_e32 v5, 15, v4
	v_add_u16_e32 v4, v4, v5
	v_ashrrev_i16_e32 v4, 1, v4
	v_add_u32_sdwa v4, v2, sext(v4) dst_sel:DWORD dst_unused:UNUSED_PAD src0_sel:DWORD src1_sel:WORD_0
	v_min_i32_e32 v4, 0x7ff, v4
	v_lshlrev_b32_e32 v5, 2, v4
	ds_read_b32 v5, v5 offset:16384
	v_add_u32_e32 v6, 1, v4
	s_waitcnt lgkmcnt(0)
	v_cmp_gt_u32_e32 vcc, v5, v16
	v_cndmask_b32_e32 v2, v6, v2, vcc
	v_cndmask_b32_e32 v3, v3, v4, vcc
	v_sub_u32_e32 v4, v3, v2
	v_lshrrev_b16_e32 v5, 15, v4
	v_add_u16_e32 v4, v4, v5
	v_ashrrev_i16_e32 v4, 1, v4
	v_add_u32_sdwa v4, v2, sext(v4) dst_sel:DWORD dst_unused:UNUSED_PAD src0_sel:DWORD src1_sel:WORD_0
	v_min_i32_e32 v4, 0x7ff, v4
	v_lshlrev_b32_e32 v5, 2, v4
	ds_read_b32 v5, v5 offset:16384
	v_add_u32_e32 v6, 1, v4
	s_waitcnt lgkmcnt(0)
	v_cmp_gt_u32_e32 vcc, v5, v16
	v_cndmask_b32_e32 v2, v6, v2, vcc
	v_cndmask_b32_e32 v3, v3, v4, vcc
	v_sub_u32_e32 v4, v3, v2
	v_lshrrev_b16_e32 v5, 15, v4
	v_add_u16_e32 v4, v4, v5
	v_ashrrev_i16_e32 v4, 1, v4
	v_add_u32_sdwa v4, v2, sext(v4) dst_sel:DWORD dst_unused:UNUSED_PAD src0_sel:DWORD src1_sel:WORD_0
	v_min_i32_e32 v4, 0x7ff, v4
	v_lshlrev_b32_e32 v5, 2, v4
	ds_read_b32 v5, v5 offset:16384
	v_add_u32_e32 v6, 1, v4
	s_waitcnt lgkmcnt(0)
	v_cmp_gt_u32_e32 vcc, v5, v16
	v_cndmask_b32_e32 v2, v6, v2, vcc
	v_cndmask_b32_e32 v3, v3, v4, vcc
	v_sub_u32_e32 v4, v3, v2
	v_lshrrev_b16_e32 v5, 15, v4
	v_add_u16_e32 v4, v4, v5
	v_ashrrev_i16_e32 v4, 1, v4
	v_add_u32_sdwa v4, v2, sext(v4) dst_sel:DWORD dst_unused:UNUSED_PAD src0_sel:DWORD src1_sel:WORD_0
	v_min_i32_e32 v4, 0x7ff, v4
	v_lshlrev_b32_e32 v5, 2, v4
	ds_read_b32 v5, v5 offset:16384
	v_add_u32_e32 v6, 1, v4
	s_waitcnt lgkmcnt(0)
	v_cmp_gt_u32_e32 vcc, v5, v16
	v_cndmask_b32_e32 v2, v6, v2, vcc
	v_cndmask_b32_e32 v3, v3, v4, vcc
	v_sub_u32_e32 v4, v3, v2
	v_lshrrev_b16_e32 v5, 15, v4
	v_add_u16_e32 v4, v4, v5
	v_ashrrev_i16_e32 v4, 1, v4
	v_add_u32_sdwa v4, v2, sext(v4) dst_sel:DWORD dst_unused:UNUSED_PAD src0_sel:DWORD src1_sel:WORD_0
	v_min_i32_e32 v4, 0x7ff, v4
	v_lshlrev_b32_e32 v5, 2, v4
	ds_read_b32 v5, v5 offset:16384
	v_add_u32_e32 v6, 1, v4
	s_waitcnt lgkmcnt(0)
	v_cmp_gt_u32_e32 vcc, v5, v16
	v_cndmask_b32_e32 v2, v6, v2, vcc
	v_cndmask_b32_e32 v3, v3, v4, vcc
	v_sub_u32_e32 v4, v3, v2
	v_lshrrev_b16_e32 v5, 15, v4
	v_add_u16_e32 v4, v4, v5
	v_ashrrev_i16_e32 v4, 1, v4
	v_add_u32_sdwa v4, v2, sext(v4) dst_sel:DWORD dst_unused:UNUSED_PAD src0_sel:DWORD src1_sel:WORD_0
	v_min_i32_e32 v4, 0x7ff, v4
	v_lshlrev_b32_e32 v5, 2, v4
	ds_read_b32 v5, v5 offset:16384
	v_add_u32_e32 v6, 1, v4
	s_waitcnt lgkmcnt(0)
	v_cmp_gt_u32_e32 vcc, v5, v16
	v_cndmask_b32_e32 v2, v6, v2, vcc
	v_cndmask_b32_e32 v3, v3, v4, vcc
	v_sub_u32_e32 v4, v3, v2
	v_lshrrev_b16_e32 v5, 15, v4
	v_add_u16_e32 v4, v4, v5
	v_ashrrev_i16_e32 v4, 1, v4
	v_add_u32_sdwa v4, v2, sext(v4) dst_sel:DWORD dst_unused:UNUSED_PAD src0_sel:DWORD src1_sel:WORD_0
	v_min_i32_e32 v4, 0x7ff, v4
	v_lshlrev_b32_e32 v5, 2, v4
	ds_read_b32 v5, v5 offset:16384
	v_add_u32_e32 v6, 1, v4
	s_waitcnt lgkmcnt(0)
	v_cmp_gt_u32_e32 vcc, v5, v16
	v_cndmask_b32_e32 v2, v6, v2, vcc
	v_cndmask_b32_e32 v3, v3, v4, vcc
	v_sub_u32_e32 v4, v3, v2
	v_lshrrev_b32_e32 v5, 31, v4
	v_add_u32_e32 v4, v4, v5
	v_ashrrev_i32_e32 v4, 1, v4
	v_add_u32_e32 v4, v4, v2
	v_min_i32_e32 v4, 0x7ff, v4
	v_lshlrev_b32_e32 v5, 2, v4
	ds_read_b32 v5, v5 offset:16384
	v_add_u32_e32 v6, 1, v4
	s_waitcnt lgkmcnt(0)
	v_cmp_gt_u32_e32 vcc, v5, v16
	v_cndmask_b32_e32 v2, v6, v2, vcc
	v_cndmask_b32_e32 v3, v3, v4, vcc
	v_sub_u32_e32 v3, v3, v2
	v_lshrrev_b32_e32 v4, 31, v3
	v_add_u32_e32 v3, v3, v4
	v_ashrrev_i32_e32 v3, 1, v3
	v_add_u32_e32 v3, v3, v2
	v_min_i32_e32 v3, 0x7ff, v3
	v_lshlrev_b32_e32 v4, 2, v3
	ds_read_b32 v4, v4 offset:16384
	v_add_u32_e32 v3, 1, v3
	s_waitcnt lgkmcnt(0)
	v_cmp_gt_u32_e32 vcc, v4, v16
	v_cndmask_b32_e32 v6, v3, v2, vcc
	v_add_u32_e32 v33, -1, v6
	v_cmp_ne_u32_e32 vcc, s4, v33
                                        ; implicit-def: $vgpr4
	s_and_saveexec_b64 s[0:1], vcc
	s_xor_b64 s[0:1], exec, s[0:1]
	s_cbranch_execz .LBB16_11
; %bb.10:                               ;   in Loop: Header=BB16_9 Depth=1
	v_lshlrev_b32_e32 v2, 2, v6
	ds_read_b32 v4, v2 offset:16384
.LBB16_11:                              ;   in Loop: Header=BB16_9 Depth=1
	s_andn2_saveexec_b64 s[0:1], s[0:1]
	s_cbranch_execz .LBB16_13
; %bb.12:                               ;   in Loop: Header=BB16_9 Depth=1
	s_waitcnt lgkmcnt(0)
	v_add_u32_e32 v4, 8, v16
.LBB16_13:                              ;   in Loop: Header=BB16_9 Depth=1
	s_or_b64 exec, exec, s[0:1]
	v_lshlrev_b32_e32 v2, 3, v33
	ds_read_b64 v[2:3], v2
	s_waitcnt lgkmcnt(1)
	v_add_u32_e32 v17, -1, v4
	v_cmp_eq_u32_e32 vcc, v16, v17
	s_waitcnt lgkmcnt(0)
	v_pk_mov_b32 v[4:5], v[2:3], v[2:3] op_sel:[0,1]
	s_and_saveexec_b64 s[0:1], vcc
	s_cbranch_execz .LBB16_19
; %bb.14:                               ;   in Loop: Header=BB16_9 Depth=1
	v_cmp_ne_u32_e32 vcc, s4, v6
                                        ; implicit-def: $vgpr7
	s_and_saveexec_b64 s[2:3], vcc
	s_xor_b64 s[2:3], exec, s[2:3]
	s_cbranch_execz .LBB16_16
; %bb.15:                               ;   in Loop: Header=BB16_9 Depth=1
	v_lshlrev_b32_e32 v4, 2, v6
	ds_read_b32 v7, v4 offset:16388
.LBB16_16:                              ;   in Loop: Header=BB16_9 Depth=1
	s_andn2_saveexec_b64 s[2:3], s[2:3]
	s_cbranch_execz .LBB16_18
; %bb.17:                               ;   in Loop: Header=BB16_9 Depth=1
	s_waitcnt lgkmcnt(0)
	v_add_u32_e32 v7, 8, v16
.LBB16_18:                              ;   in Loop: Header=BB16_9 Depth=1
	s_or_b64 exec, exec, s[2:3]
	v_lshlrev_b32_e32 v4, 3, v6
	ds_read_b64 v[4:5], v4
	s_waitcnt lgkmcnt(1)
	v_add_u32_e32 v17, -1, v7
	v_mov_b32_e32 v33, v6
.LBB16_19:                              ;   in Loop: Header=BB16_9 Depth=1
	s_or_b64 exec, exec, s[0:1]
	v_add_u32_e32 v6, 1, v16
	v_cmp_eq_u32_e32 vcc, v6, v17
	s_waitcnt lgkmcnt(0)
	v_pk_mov_b32 v[6:7], v[4:5], v[4:5] op_sel:[0,1]
	s_and_saveexec_b64 s[0:1], vcc
	s_cbranch_execz .LBB16_25
; %bb.20:                               ;   in Loop: Header=BB16_9 Depth=1
	v_add_u32_e32 v8, 1, v33
	v_cmp_ne_u32_e32 vcc, s4, v8
                                        ; implicit-def: $vgpr9
	s_and_saveexec_b64 s[2:3], vcc
	s_xor_b64 s[2:3], exec, s[2:3]
	s_cbranch_execz .LBB16_22
; %bb.21:                               ;   in Loop: Header=BB16_9 Depth=1
	v_lshlrev_b32_e32 v6, 2, v33
	ds_read_b32 v9, v6 offset:16392
.LBB16_22:                              ;   in Loop: Header=BB16_9 Depth=1
	s_andn2_saveexec_b64 s[2:3], s[2:3]
	s_cbranch_execz .LBB16_24
; %bb.23:                               ;   in Loop: Header=BB16_9 Depth=1
	s_waitcnt lgkmcnt(0)
	v_add_u32_e32 v9, 9, v16
.LBB16_24:                              ;   in Loop: Header=BB16_9 Depth=1
	s_or_b64 exec, exec, s[2:3]
	v_lshlrev_b32_e32 v6, 3, v8
	ds_read_b64 v[6:7], v6
	s_waitcnt lgkmcnt(1)
	v_add_u32_e32 v17, -1, v9
	v_mov_b32_e32 v33, v8
.LBB16_25:                              ;   in Loop: Header=BB16_9 Depth=1
	s_or_b64 exec, exec, s[0:1]
	v_add_u32_e32 v8, 2, v16
	v_cmp_eq_u32_e32 vcc, v8, v17
	s_waitcnt lgkmcnt(0)
	v_pk_mov_b32 v[8:9], v[6:7], v[6:7] op_sel:[0,1]
	s_and_saveexec_b64 s[0:1], vcc
	s_cbranch_execz .LBB16_31
; %bb.26:                               ;   in Loop: Header=BB16_9 Depth=1
	v_add_u32_e32 v10, 1, v33
	v_cmp_ne_u32_e32 vcc, s4, v10
                                        ; implicit-def: $vgpr11
	s_and_saveexec_b64 s[2:3], vcc
	s_xor_b64 s[2:3], exec, s[2:3]
	s_cbranch_execz .LBB16_28
; %bb.27:                               ;   in Loop: Header=BB16_9 Depth=1
	v_lshlrev_b32_e32 v8, 2, v33
	ds_read_b32 v11, v8 offset:16392
.LBB16_28:                              ;   in Loop: Header=BB16_9 Depth=1
	s_andn2_saveexec_b64 s[2:3], s[2:3]
	s_cbranch_execz .LBB16_30
; %bb.29:                               ;   in Loop: Header=BB16_9 Depth=1
	s_waitcnt lgkmcnt(0)
	v_add_u32_e32 v11, 10, v16
.LBB16_30:                              ;   in Loop: Header=BB16_9 Depth=1
	s_or_b64 exec, exec, s[2:3]
	v_lshlrev_b32_e32 v8, 3, v10
	ds_read_b64 v[8:9], v8
	s_waitcnt lgkmcnt(1)
	v_add_u32_e32 v17, -1, v11
	v_mov_b32_e32 v33, v10
.LBB16_31:                              ;   in Loop: Header=BB16_9 Depth=1
	s_or_b64 exec, exec, s[0:1]
	v_add_u32_e32 v10, 3, v16
	v_cmp_eq_u32_e32 vcc, v10, v17
	s_waitcnt lgkmcnt(0)
	v_pk_mov_b32 v[10:11], v[8:9], v[8:9] op_sel:[0,1]
	s_and_saveexec_b64 s[0:1], vcc
	s_cbranch_execz .LBB16_37
; %bb.32:                               ;   in Loop: Header=BB16_9 Depth=1
	v_add_u32_e32 v12, 1, v33
	v_cmp_ne_u32_e32 vcc, s4, v12
                                        ; implicit-def: $vgpr13
	s_and_saveexec_b64 s[2:3], vcc
	s_xor_b64 s[2:3], exec, s[2:3]
	s_cbranch_execz .LBB16_34
; %bb.33:                               ;   in Loop: Header=BB16_9 Depth=1
	v_lshlrev_b32_e32 v10, 2, v33
	ds_read_b32 v13, v10 offset:16392
.LBB16_34:                              ;   in Loop: Header=BB16_9 Depth=1
	s_andn2_saveexec_b64 s[2:3], s[2:3]
	s_cbranch_execz .LBB16_36
; %bb.35:                               ;   in Loop: Header=BB16_9 Depth=1
	s_waitcnt lgkmcnt(0)
	v_add_u32_e32 v13, 11, v16
.LBB16_36:                              ;   in Loop: Header=BB16_9 Depth=1
	s_or_b64 exec, exec, s[2:3]
	v_lshlrev_b32_e32 v10, 3, v12
	ds_read_b64 v[10:11], v10
	s_waitcnt lgkmcnt(1)
	v_add_u32_e32 v17, -1, v13
	v_mov_b32_e32 v33, v12
.LBB16_37:                              ;   in Loop: Header=BB16_9 Depth=1
	s_or_b64 exec, exec, s[0:1]
	v_add_u32_e32 v12, 4, v16
	v_cmp_eq_u32_e32 vcc, v12, v17
	s_waitcnt lgkmcnt(0)
	v_pk_mov_b32 v[12:13], v[10:11], v[10:11] op_sel:[0,1]
	s_and_saveexec_b64 s[0:1], vcc
	s_cbranch_execz .LBB16_43
; %bb.38:                               ;   in Loop: Header=BB16_9 Depth=1
	v_add_u32_e32 v14, 1, v33
	v_cmp_ne_u32_e32 vcc, s4, v14
                                        ; implicit-def: $vgpr15
	s_and_saveexec_b64 s[2:3], vcc
	s_xor_b64 s[2:3], exec, s[2:3]
	s_cbranch_execz .LBB16_40
; %bb.39:                               ;   in Loop: Header=BB16_9 Depth=1
	v_lshlrev_b32_e32 v12, 2, v33
	ds_read_b32 v15, v12 offset:16392
.LBB16_40:                              ;   in Loop: Header=BB16_9 Depth=1
	s_andn2_saveexec_b64 s[2:3], s[2:3]
	s_cbranch_execz .LBB16_42
; %bb.41:                               ;   in Loop: Header=BB16_9 Depth=1
	s_waitcnt lgkmcnt(0)
	v_add_u32_e32 v15, 12, v16
.LBB16_42:                              ;   in Loop: Header=BB16_9 Depth=1
	s_or_b64 exec, exec, s[2:3]
	v_lshlrev_b32_e32 v12, 3, v14
	ds_read_b64 v[12:13], v12
	s_waitcnt lgkmcnt(1)
	v_add_u32_e32 v17, -1, v15
	v_mov_b32_e32 v33, v14
.LBB16_43:                              ;   in Loop: Header=BB16_9 Depth=1
	s_or_b64 exec, exec, s[0:1]
	v_add_u32_e32 v14, 5, v16
	v_cmp_eq_u32_e32 vcc, v14, v17
	s_waitcnt lgkmcnt(0)
	v_pk_mov_b32 v[14:15], v[12:13], v[12:13] op_sel:[0,1]
	s_and_saveexec_b64 s[0:1], vcc
	s_cbranch_execz .LBB16_49
; %bb.44:                               ;   in Loop: Header=BB16_9 Depth=1
	v_add_u32_e32 v34, 1, v33
	v_cmp_ne_u32_e32 vcc, s4, v34
                                        ; implicit-def: $vgpr17
	s_and_saveexec_b64 s[2:3], vcc
	s_xor_b64 s[2:3], exec, s[2:3]
	s_cbranch_execz .LBB16_46
; %bb.45:                               ;   in Loop: Header=BB16_9 Depth=1
	v_lshlrev_b32_e32 v14, 2, v33
	ds_read_b32 v17, v14 offset:16392
.LBB16_46:                              ;   in Loop: Header=BB16_9 Depth=1
	s_andn2_saveexec_b64 s[2:3], s[2:3]
	s_cbranch_execz .LBB16_48
; %bb.47:                               ;   in Loop: Header=BB16_9 Depth=1
	s_waitcnt lgkmcnt(0)
	v_add_u32_e32 v17, 13, v16
.LBB16_48:                              ;   in Loop: Header=BB16_9 Depth=1
	s_or_b64 exec, exec, s[2:3]
	v_lshlrev_b32_e32 v14, 3, v34
	ds_read_b64 v[14:15], v14
	s_waitcnt lgkmcnt(1)
	v_add_u32_e32 v17, -1, v17
	v_mov_b32_e32 v33, v34
.LBB16_49:                              ;   in Loop: Header=BB16_9 Depth=1
	s_or_b64 exec, exec, s[0:1]
	v_add_u32_e32 v16, 6, v16
	v_cmp_eq_u32_e32 vcc, v16, v17
	s_waitcnt lgkmcnt(0)
	v_pk_mov_b32 v[16:17], v[14:15], v[14:15] op_sel:[0,1]
	s_and_saveexec_b64 s[0:1], vcc
	s_cbranch_execz .LBB16_51
; %bb.50:                               ;   in Loop: Header=BB16_9 Depth=1
	v_lshlrev_b32_e32 v16, 3, v33
	ds_read_b64 v[16:17], v16 offset:8
.LBB16_51:                              ;   in Loop: Header=BB16_9 Depth=1
	s_or_b64 exec, exec, s[0:1]
	s_min_u32 s2, s5, 0x800
	v_cmp_gt_u32_e32 vcc, s2, v18
	s_and_saveexec_b64 s[0:1], vcc
	s_cbranch_execnz .LBB16_59
; %bb.52:                               ;   in Loop: Header=BB16_9 Depth=1
	s_or_b64 exec, exec, s[0:1]
	v_cmp_gt_u32_e32 vcc, s2, v22
	s_and_saveexec_b64 s[0:1], vcc
	s_cbranch_execnz .LBB16_60
.LBB16_53:                              ;   in Loop: Header=BB16_9 Depth=1
	s_or_b64 exec, exec, s[0:1]
	v_cmp_gt_u32_e32 vcc, s2, v23
	s_and_saveexec_b64 s[0:1], vcc
	s_cbranch_execnz .LBB16_61
.LBB16_54:                              ;   in Loop: Header=BB16_9 Depth=1
	s_or_b64 exec, exec, s[0:1]
	v_cmp_gt_u32_e32 vcc, s2, v25
	s_and_saveexec_b64 s[0:1], vcc
	s_cbranch_execnz .LBB16_62
.LBB16_55:                              ;   in Loop: Header=BB16_9 Depth=1
	s_or_b64 exec, exec, s[0:1]
	v_cmp_gt_u32_e32 vcc, s2, v26
	s_and_saveexec_b64 s[0:1], vcc
	s_cbranch_execnz .LBB16_63
.LBB16_56:                              ;   in Loop: Header=BB16_9 Depth=1
	s_or_b64 exec, exec, s[0:1]
	v_cmp_gt_u32_e32 vcc, s2, v27
	s_and_saveexec_b64 s[0:1], vcc
	s_cbranch_execnz .LBB16_64
.LBB16_57:                              ;   in Loop: Header=BB16_9 Depth=1
	s_or_b64 exec, exec, s[0:1]
	v_cmp_gt_u32_e32 vcc, s2, v28
	s_and_saveexec_b64 s[0:1], vcc
	s_cbranch_execnz .LBB16_65
.LBB16_58:                              ;   in Loop: Header=BB16_9 Depth=1
	s_or_b64 exec, exec, s[0:1]
	v_cmp_gt_u32_e32 vcc, s2, v29
	s_and_saveexec_b64 s[0:1], vcc
	s_cbranch_execz .LBB16_8
	s_branch .LBB16_66
.LBB16_59:                              ;   in Loop: Header=BB16_9 Depth=1
	global_store_dwordx2 v[0:1], v[2:3], off offset:-56
	s_or_b64 exec, exec, s[0:1]
	v_cmp_gt_u32_e32 vcc, s2, v22
	s_and_saveexec_b64 s[0:1], vcc
	s_cbranch_execz .LBB16_53
.LBB16_60:                              ;   in Loop: Header=BB16_9 Depth=1
	global_store_dwordx2 v[0:1], v[4:5], off offset:-48
	s_or_b64 exec, exec, s[0:1]
	v_cmp_gt_u32_e32 vcc, s2, v23
	s_and_saveexec_b64 s[0:1], vcc
	s_cbranch_execz .LBB16_54
.LBB16_61:                              ;   in Loop: Header=BB16_9 Depth=1
	global_store_dwordx2 v[0:1], v[6:7], off offset:-40
	s_or_b64 exec, exec, s[0:1]
	v_cmp_gt_u32_e32 vcc, s2, v25
	s_and_saveexec_b64 s[0:1], vcc
	s_cbranch_execz .LBB16_55
.LBB16_62:                              ;   in Loop: Header=BB16_9 Depth=1
	global_store_dwordx2 v[0:1], v[8:9], off offset:-32
	s_or_b64 exec, exec, s[0:1]
	v_cmp_gt_u32_e32 vcc, s2, v26
	s_and_saveexec_b64 s[0:1], vcc
	s_cbranch_execz .LBB16_56
.LBB16_63:                              ;   in Loop: Header=BB16_9 Depth=1
	global_store_dwordx2 v[0:1], v[10:11], off offset:-24
	s_or_b64 exec, exec, s[0:1]
	v_cmp_gt_u32_e32 vcc, s2, v27
	s_and_saveexec_b64 s[0:1], vcc
	s_cbranch_execz .LBB16_57
.LBB16_64:                              ;   in Loop: Header=BB16_9 Depth=1
	global_store_dwordx2 v[0:1], v[12:13], off offset:-16
	s_or_b64 exec, exec, s[0:1]
	v_cmp_gt_u32_e32 vcc, s2, v28
	s_and_saveexec_b64 s[0:1], vcc
	s_cbranch_execz .LBB16_58
.LBB16_65:                              ;   in Loop: Header=BB16_9 Depth=1
	global_store_dwordx2 v[0:1], v[14:15], off offset:-8
	s_or_b64 exec, exec, s[0:1]
	v_cmp_gt_u32_e32 vcc, s2, v29
	s_and_saveexec_b64 s[0:1], vcc
	s_cbranch_execz .LBB16_8
.LBB16_66:                              ;   in Loop: Header=BB16_9 Depth=1
	s_waitcnt lgkmcnt(0)
	global_store_dwordx2 v[0:1], v[16:17], off
	s_branch .LBB16_8
.LBB16_67:
	s_endpgm
	.section	.rodata,"a",@progbits
	.p2align	6, 0x0
	.amdhsa_kernel _Z30block_run_length_decode_kernelIdcLj256ELj8ELj8EEvPKT_PKT0_PS0_
		.amdhsa_group_segment_fixed_size 24576
		.amdhsa_private_segment_fixed_size 0
		.amdhsa_kernarg_size 24
		.amdhsa_user_sgpr_count 6
		.amdhsa_user_sgpr_private_segment_buffer 1
		.amdhsa_user_sgpr_dispatch_ptr 0
		.amdhsa_user_sgpr_queue_ptr 0
		.amdhsa_user_sgpr_kernarg_segment_ptr 1
		.amdhsa_user_sgpr_dispatch_id 0
		.amdhsa_user_sgpr_flat_scratch_init 0
		.amdhsa_user_sgpr_kernarg_preload_length 0
		.amdhsa_user_sgpr_kernarg_preload_offset 0
		.amdhsa_user_sgpr_private_segment_size 0
		.amdhsa_uses_dynamic_stack 0
		.amdhsa_system_sgpr_private_segment_wavefront_offset 0
		.amdhsa_system_sgpr_workgroup_id_x 1
		.amdhsa_system_sgpr_workgroup_id_y 0
		.amdhsa_system_sgpr_workgroup_id_z 0
		.amdhsa_system_sgpr_workgroup_info 0
		.amdhsa_system_vgpr_workitem_id 0
		.amdhsa_next_free_vgpr 35
		.amdhsa_next_free_sgpr 8
		.amdhsa_accum_offset 36
		.amdhsa_reserve_vcc 1
		.amdhsa_reserve_flat_scratch 0
		.amdhsa_float_round_mode_32 0
		.amdhsa_float_round_mode_16_64 0
		.amdhsa_float_denorm_mode_32 3
		.amdhsa_float_denorm_mode_16_64 3
		.amdhsa_dx10_clamp 1
		.amdhsa_ieee_mode 1
		.amdhsa_fp16_overflow 0
		.amdhsa_tg_split 0
		.amdhsa_exception_fp_ieee_invalid_op 0
		.amdhsa_exception_fp_denorm_src 0
		.amdhsa_exception_fp_ieee_div_zero 0
		.amdhsa_exception_fp_ieee_overflow 0
		.amdhsa_exception_fp_ieee_underflow 0
		.amdhsa_exception_fp_ieee_inexact 0
		.amdhsa_exception_int_div_zero 0
	.end_amdhsa_kernel
	.section	.text._Z30block_run_length_decode_kernelIdcLj256ELj8ELj8EEvPKT_PKT0_PS0_,"axG",@progbits,_Z30block_run_length_decode_kernelIdcLj256ELj8ELj8EEvPKT_PKT0_PS0_,comdat
.Lfunc_end16:
	.size	_Z30block_run_length_decode_kernelIdcLj256ELj8ELj8EEvPKT_PKT0_PS0_, .Lfunc_end16-_Z30block_run_length_decode_kernelIdcLj256ELj8ELj8EEvPKT_PKT0_PS0_
                                        ; -- End function
	.section	.AMDGPU.csdata,"",@progbits
; Kernel info:
; codeLenInByte = 2680
; NumSgprs: 12
; NumVgprs: 35
; NumAgprs: 0
; TotalNumVgprs: 35
; ScratchSize: 0
; MemoryBound: 0
; FloatMode: 240
; IeeeMode: 1
; LDSByteSize: 24576 bytes/workgroup (compile time only)
; SGPRBlocks: 1
; VGPRBlocks: 4
; NumSGPRsForWavesPerEU: 12
; NumVGPRsForWavesPerEU: 35
; AccumOffset: 36
; Occupancy: 2
; WaveLimiterHint : 0
; COMPUTE_PGM_RSRC2:SCRATCH_EN: 0
; COMPUTE_PGM_RSRC2:USER_SGPR: 6
; COMPUTE_PGM_RSRC2:TRAP_HANDLER: 0
; COMPUTE_PGM_RSRC2:TGID_X_EN: 1
; COMPUTE_PGM_RSRC2:TGID_Y_EN: 0
; COMPUTE_PGM_RSRC2:TGID_Z_EN: 0
; COMPUTE_PGM_RSRC2:TIDIG_COMP_CNT: 0
; COMPUTE_PGM_RSRC3_GFX90A:ACCUM_OFFSET: 8
; COMPUTE_PGM_RSRC3_GFX90A:TG_SPLIT: 0
	.section	.text._Z30block_run_length_decode_kernelIiiLj256ELj8ELj8EEvPKT_PKT0_PS0_,"axG",@progbits,_Z30block_run_length_decode_kernelIiiLj256ELj8ELj8EEvPKT_PKT0_PS0_,comdat
	.protected	_Z30block_run_length_decode_kernelIiiLj256ELj8ELj8EEvPKT_PKT0_PS0_ ; -- Begin function _Z30block_run_length_decode_kernelIiiLj256ELj8ELj8EEvPKT_PKT0_PS0_
	.globl	_Z30block_run_length_decode_kernelIiiLj256ELj8ELj8EEvPKT_PKT0_PS0_
	.p2align	8
	.type	_Z30block_run_length_decode_kernelIiiLj256ELj8ELj8EEvPKT_PKT0_PS0_,@function
_Z30block_run_length_decode_kernelIiiLj256ELj8ELj8EEvPKT_PKT0_PS0_: ; @_Z30block_run_length_decode_kernelIiiLj256ELj8ELj8EEvPKT_PKT0_PS0_
; %bb.0:
	s_load_dwordx4 s[0:3], s[4:5], 0x0
	v_lshlrev_b32_e32 v22, 3, v0
	v_lshl_or_b32 v18, s6, 11, v22
	v_mov_b32_e32 v19, 0
	v_lshlrev_b64 v[20:21], 2, v[18:19]
	s_waitcnt lgkmcnt(0)
	v_mov_b32_e32 v1, s3
	v_add_co_u32_e32 v2, vcc, s2, v20
	v_addc_co_u32_e32 v3, vcc, v1, v21, vcc
	global_load_dwordx4 v[14:17], v[2:3], off
	global_load_dwordx4 v[10:13], v[2:3], off offset:16
	v_mov_b32_e32 v1, s1
	v_add_co_u32_e32 v24, vcc, s0, v20
	v_addc_co_u32_e32 v25, vcc, v1, v21, vcc
	global_load_dwordx4 v[2:5], v[24:25], off offset:16
	global_load_dwordx4 v[6:9], v[24:25], off
	v_mbcnt_lo_u32_b32 v1, -1, 0
	v_mbcnt_hi_u32_b32 v1, -1, v1
	v_and_b32_e32 v24, 15, v1
	v_cmp_ne_u32_e32 vcc, 0, v24
	v_bfe_i32 v25, v1, 4, 1
	v_or_b32_e32 v23, 63, v0
	v_lshrrev_b32_e32 v19, 6, v0
	s_waitcnt vmcnt(3)
	v_add_u32_e32 v26, v15, v14
	v_add3_u32 v26, v26, v16, v17
	s_waitcnt vmcnt(2)
	v_add3_u32 v26, v26, v10, v11
	v_add3_u32 v13, v26, v12, v13
	s_nop 1
	v_mov_b32_dpp v26, v13 row_shr:1 row_mask:0xf bank_mask:0xf
	v_cndmask_b32_e32 v26, 0, v26, vcc
	v_add_u32_e32 v13, v26, v13
	v_cmp_lt_u32_e32 vcc, 1, v24
	s_nop 0
	v_mov_b32_dpp v26, v13 row_shr:2 row_mask:0xf bank_mask:0xf
	v_cndmask_b32_e32 v26, 0, v26, vcc
	v_add_u32_e32 v13, v13, v26
	v_cmp_lt_u32_e32 vcc, 3, v24
	;; [unrolled: 5-line block ×4, first 2 shown]
	s_nop 0
	v_mov_b32_dpp v24, v13 row_bcast:15 row_mask:0xf bank_mask:0xf
	v_and_b32_e32 v24, v25, v24
	v_add_u32_e32 v13, v13, v24
	s_nop 1
	v_mov_b32_dpp v24, v13 row_bcast:31 row_mask:0xf bank_mask:0xf
	v_cndmask_b32_e32 v24, 0, v24, vcc
	v_add_u32_e32 v13, v13, v24
	v_cmp_eq_u32_e32 vcc, v23, v0
	s_and_saveexec_b64 s[0:1], vcc
	s_cbranch_execz .LBB17_2
; %bb.1:
	v_lshlrev_b32_e32 v23, 2, v19
	ds_write_b32 v23, v13
.LBB17_2:
	s_or_b64 exec, exec, s[0:1]
	v_cmp_gt_u32_e32 vcc, 4, v0
	s_waitcnt lgkmcnt(0)
	s_barrier
	s_and_saveexec_b64 s[0:1], vcc
	s_cbranch_execz .LBB17_4
; %bb.3:
	v_lshlrev_b32_e32 v23, 2, v0
	ds_read_b32 v24, v23
	v_and_b32_e32 v25, 3, v1
	v_cmp_ne_u32_e32 vcc, 0, v25
	s_waitcnt lgkmcnt(0)
	v_mov_b32_dpp v26, v24 row_shr:1 row_mask:0xf bank_mask:0xf
	v_cndmask_b32_e32 v26, 0, v26, vcc
	v_add_u32_e32 v24, v26, v24
	v_cmp_lt_u32_e32 vcc, 1, v25
	s_nop 0
	v_mov_b32_dpp v26, v24 row_shr:2 row_mask:0xf bank_mask:0xf
	v_cndmask_b32_e32 v25, 0, v26, vcc
	v_add_u32_e32 v24, v24, v25
	ds_write_b32 v23, v24
.LBB17_4:
	s_or_b64 exec, exec, s[0:1]
	v_cmp_lt_u32_e32 vcc, 63, v0
	v_mov_b32_e32 v23, 0
	v_mov_b32_e32 v24, 0
	s_waitcnt lgkmcnt(0)
	s_barrier
	s_and_saveexec_b64 s[0:1], vcc
	s_cbranch_execz .LBB17_6
; %bb.5:
	v_lshl_add_u32 v19, v19, 2, -4
	ds_read_b32 v24, v19
.LBB17_6:
	s_or_b64 exec, exec, s[0:1]
	v_add_u32_e32 v19, -1, v1
	v_and_b32_e32 v25, 64, v1
	v_cmp_lt_i32_e32 vcc, v19, v25
	v_cndmask_b32_e32 v19, v19, v1, vcc
	s_waitcnt lgkmcnt(0)
	v_add_u32_e32 v13, v24, v13
	v_lshlrev_b32_e32 v19, 2, v19
	ds_bpermute_b32 v13, v19, v13
	v_cmp_eq_u32_e32 vcc, 0, v1
	s_mov_b32 s6, 0
	s_waitcnt lgkmcnt(0)
	v_cndmask_b32_e32 v1, v13, v24, vcc
	v_cmp_ne_u32_e32 vcc, 0, v0
	v_cndmask_b32_e32 v0, 0, v1, vcc
	v_add_u32_e32 v1, v0, v14
	v_add_u32_e32 v13, v1, v15
	ds_read_b32 v15, v23 offset:12
	v_add_u32_e32 v14, v13, v16
	v_add_u32_e32 v16, v14, v17
	v_lshlrev_b32_e32 v17, 2, v22
	v_add_u32_e32 v10, v16, v10
	s_waitcnt lgkmcnt(0)
	s_barrier
	v_or_b32_e32 v19, 0x2000, v17
	s_waitcnt vmcnt(0)
	ds_write2_b32 v17, v6, v7 offset1:1
	ds_write2_b32 v19, v0, v1 offset1:1
	v_add_u32_e32 v0, 0x2008, v17
	v_cmp_eq_u32_e32 vcc, 0, v15
	v_add_u32_e32 v11, v10, v11
	v_readfirstlane_b32 s7, v15
	ds_write2_b32 v17, v8, v9 offset0:2 offset1:3
	ds_write2_b32 v0, v13, v14 offset1:1
	v_add_u32_e32 v0, 0x2010, v17
	s_and_b64 vcc, exec, vcc
	v_add_u32_e32 v12, v11, v12
	ds_write2_b32 v17, v2, v3 offset0:4 offset1:5
	ds_write2_b32 v0, v16, v10 offset1:1
	v_add_u32_e32 v0, 0x2018, v17
	ds_write2_b32 v17, v4, v5 offset0:6 offset1:7
	ds_write2_b32 v0, v11, v12 offset1:1
	s_waitcnt lgkmcnt(0)
	s_barrier
	s_cbranch_vccnz .LBB17_67
; %bb.7:
	s_load_dwordx2 s[0:1], s[4:5], 0x10
	v_mov_b32_e32 v0, 0
	ds_read_b32 v2, v0 offset:12288
	v_or_b32_e32 v3, 1, v18
	v_or_b32_e32 v4, 2, v18
	s_waitcnt lgkmcnt(0)
	v_mov_b32_e32 v0, s1
	v_add_co_u32_e32 v1, vcc, s0, v20
	v_addc_co_u32_e32 v10, vcc, v21, v0, vcc
	v_add_co_u32_e32 v0, vcc, 28, v1
	v_or_b32_e32 v5, 3, v18
	v_or_b32_e32 v6, 4, v18
	v_or_b32_e32 v7, 5, v18
	v_or_b32_e32 v8, 6, v18
	v_or_b32_e32 v9, 7, v18
	v_addc_co_u32_e32 v1, vcc, 0, v10, vcc
	v_mov_b32_e32 v10, 0x401
	v_mov_b32_e32 v11, 0x800
	;; [unrolled: 1-line block ×5, first 2 shown]
	s_movk_i32 s4, 0x7ff
	s_mov_b32 s5, s7
	s_branch .LBB17_9
.LBB17_8:                               ;   in Loop: Header=BB17_9 Depth=1
	s_or_b64 exec, exec, s[0:1]
	s_addk_i32 s6, 0x800
	s_addk_i32 s5, 0xf800
	v_add_co_u32_e32 v0, vcc, 0x2000, v0
	s_cmp_lt_u32 s6, s7
	v_addc_co_u32_e32 v1, vcc, 0, v1, vcc
	s_cbranch_scc0 .LBB17_67
.LBB17_9:                               ; =>This Inner Loop Header: Depth=1
	s_waitcnt lgkmcnt(0)
	v_add_u32_e32 v15, s6, v22
	v_cmp_gt_u32_e32 vcc, v2, v15
	v_cndmask_b32_e32 v17, v13, v14, vcc
	v_lshlrev_b32_e32 v19, 2, v17
	ds_read_b32 v19, v19 offset:8192
	v_cndmask_b32_e64 v16, v10, 0, vcc
	v_cndmask_b32_e32 v20, v11, v12, vcc
	v_or_b32_e32 v21, 1, v17
	s_waitcnt lgkmcnt(0)
	v_cmp_gt_u32_e32 vcc, v19, v15
	v_cndmask_b32_e32 v16, v21, v16, vcc
	v_cndmask_b32_e32 v17, v20, v17, vcc
	v_sub_u32_e32 v19, v17, v16
	v_lshrrev_b16_e32 v20, 15, v19
	v_add_u16_e32 v19, v19, v20
	v_ashrrev_i16_e32 v19, 1, v19
	v_add_u32_sdwa v19, v16, sext(v19) dst_sel:DWORD dst_unused:UNUSED_PAD src0_sel:DWORD src1_sel:WORD_0
	v_min_i32_e32 v19, 0x7ff, v19
	v_lshlrev_b32_e32 v20, 2, v19
	ds_read_b32 v20, v20 offset:8192
	v_add_u32_e32 v21, 1, v19
	s_waitcnt lgkmcnt(0)
	v_cmp_gt_u32_e32 vcc, v20, v15
	v_cndmask_b32_e32 v16, v21, v16, vcc
	v_cndmask_b32_e32 v17, v17, v19, vcc
	v_sub_u32_e32 v19, v17, v16
	v_lshrrev_b16_e32 v20, 15, v19
	v_add_u16_e32 v19, v19, v20
	v_ashrrev_i16_e32 v19, 1, v19
	v_add_u32_sdwa v19, v16, sext(v19) dst_sel:DWORD dst_unused:UNUSED_PAD src0_sel:DWORD src1_sel:WORD_0
	v_min_i32_e32 v19, 0x7ff, v19
	v_lshlrev_b32_e32 v20, 2, v19
	ds_read_b32 v20, v20 offset:8192
	v_add_u32_e32 v21, 1, v19
	;; [unrolled: 13-line block ×8, first 2 shown]
	s_waitcnt lgkmcnt(0)
	v_cmp_gt_u32_e32 vcc, v20, v15
	v_cndmask_b32_e32 v16, v21, v16, vcc
	v_cndmask_b32_e32 v17, v17, v19, vcc
	v_sub_u32_e32 v19, v17, v16
	v_lshrrev_b32_e32 v20, 31, v19
	v_add_u32_e32 v19, v19, v20
	v_ashrrev_i32_e32 v19, 1, v19
	v_add_u32_e32 v19, v19, v16
	v_min_i32_e32 v19, 0x7ff, v19
	v_lshlrev_b32_e32 v20, 2, v19
	ds_read_b32 v20, v20 offset:8192
	v_add_u32_e32 v21, 1, v19
	s_waitcnt lgkmcnt(0)
	v_cmp_gt_u32_e32 vcc, v20, v15
	v_cndmask_b32_e32 v16, v21, v16, vcc
	v_cndmask_b32_e32 v17, v17, v19, vcc
	v_sub_u32_e32 v17, v17, v16
	v_lshrrev_b32_e32 v19, 31, v17
	v_add_u32_e32 v17, v17, v19
	v_ashrrev_i32_e32 v17, 1, v17
	v_add_u32_e32 v17, v17, v16
	v_min_i32_e32 v17, 0x7ff, v17
	v_lshlrev_b32_e32 v19, 2, v17
	ds_read_b32 v19, v19 offset:8192
	v_add_u32_e32 v17, 1, v17
	s_waitcnt lgkmcnt(0)
	v_cmp_gt_u32_e32 vcc, v19, v15
	v_cndmask_b32_e32 v19, v17, v16, vcc
	v_add_u32_e32 v21, -1, v19
	v_cmp_ne_u32_e32 vcc, s4, v21
                                        ; implicit-def: $vgpr17
	s_and_saveexec_b64 s[0:1], vcc
	s_xor_b64 s[0:1], exec, s[0:1]
	s_cbranch_execz .LBB17_11
; %bb.10:                               ;   in Loop: Header=BB17_9 Depth=1
	v_lshlrev_b32_e32 v16, 2, v19
	ds_read_b32 v17, v16 offset:8192
.LBB17_11:                              ;   in Loop: Header=BB17_9 Depth=1
	s_andn2_saveexec_b64 s[0:1], s[0:1]
	s_cbranch_execz .LBB17_13
; %bb.12:                               ;   in Loop: Header=BB17_9 Depth=1
	s_waitcnt lgkmcnt(0)
	v_add_u32_e32 v17, 8, v15
.LBB17_13:                              ;   in Loop: Header=BB17_9 Depth=1
	s_or_b64 exec, exec, s[0:1]
	v_lshlrev_b32_e32 v16, 2, v21
	ds_read_b32 v16, v16
	s_waitcnt lgkmcnt(1)
	v_add_u32_e32 v25, -1, v17
	v_cmp_eq_u32_e32 vcc, v15, v25
	s_waitcnt lgkmcnt(0)
	v_mov_b32_e32 v17, v16
	s_and_saveexec_b64 s[0:1], vcc
	s_cbranch_execz .LBB17_19
; %bb.14:                               ;   in Loop: Header=BB17_9 Depth=1
	v_cmp_ne_u32_e32 vcc, s4, v19
	v_lshlrev_b32_e32 v17, 2, v19
                                        ; implicit-def: $vgpr20
	s_and_saveexec_b64 s[2:3], vcc
	s_xor_b64 s[2:3], exec, s[2:3]
	s_cbranch_execz .LBB17_16
; %bb.15:                               ;   in Loop: Header=BB17_9 Depth=1
	ds_read_b32 v20, v17 offset:8196
.LBB17_16:                              ;   in Loop: Header=BB17_9 Depth=1
	s_andn2_saveexec_b64 s[2:3], s[2:3]
	s_cbranch_execz .LBB17_18
; %bb.17:                               ;   in Loop: Header=BB17_9 Depth=1
	s_waitcnt lgkmcnt(0)
	v_add_u32_e32 v20, 8, v15
.LBB17_18:                              ;   in Loop: Header=BB17_9 Depth=1
	s_or_b64 exec, exec, s[2:3]
	ds_read_b32 v17, v17
	s_waitcnt lgkmcnt(1)
	v_add_u32_e32 v25, -1, v20
	v_mov_b32_e32 v21, v19
.LBB17_19:                              ;   in Loop: Header=BB17_9 Depth=1
	s_or_b64 exec, exec, s[0:1]
	v_add_u32_e32 v19, 1, v15
	v_cmp_eq_u32_e32 vcc, v19, v25
	s_waitcnt lgkmcnt(0)
	v_mov_b32_e32 v19, v17
	s_and_saveexec_b64 s[0:1], vcc
	s_cbranch_execz .LBB17_25
; %bb.20:                               ;   in Loop: Header=BB17_9 Depth=1
	v_add_u32_e32 v20, 1, v21
	v_cmp_ne_u32_e32 vcc, s4, v20
                                        ; implicit-def: $vgpr23
	s_and_saveexec_b64 s[2:3], vcc
	s_xor_b64 s[2:3], exec, s[2:3]
	s_cbranch_execz .LBB17_22
; %bb.21:                               ;   in Loop: Header=BB17_9 Depth=1
	v_lshlrev_b32_e32 v19, 2, v21
	ds_read_b32 v23, v19 offset:8200
.LBB17_22:                              ;   in Loop: Header=BB17_9 Depth=1
	s_andn2_saveexec_b64 s[2:3], s[2:3]
	s_cbranch_execz .LBB17_24
; %bb.23:                               ;   in Loop: Header=BB17_9 Depth=1
	s_waitcnt lgkmcnt(0)
	v_add_u32_e32 v23, 9, v15
.LBB17_24:                              ;   in Loop: Header=BB17_9 Depth=1
	s_or_b64 exec, exec, s[2:3]
	v_lshlrev_b32_e32 v19, 2, v20
	ds_read_b32 v19, v19
	s_waitcnt lgkmcnt(1)
	v_add_u32_e32 v25, -1, v23
	v_mov_b32_e32 v21, v20
.LBB17_25:                              ;   in Loop: Header=BB17_9 Depth=1
	s_or_b64 exec, exec, s[0:1]
	v_add_u32_e32 v20, 2, v15
	v_cmp_eq_u32_e32 vcc, v20, v25
	s_waitcnt lgkmcnt(0)
	v_mov_b32_e32 v20, v19
	s_and_saveexec_b64 s[0:1], vcc
	s_cbranch_execz .LBB17_31
; %bb.26:                               ;   in Loop: Header=BB17_9 Depth=1
	v_add_u32_e32 v23, 1, v21
	v_cmp_ne_u32_e32 vcc, s4, v23
                                        ; implicit-def: $vgpr24
	s_and_saveexec_b64 s[2:3], vcc
	s_xor_b64 s[2:3], exec, s[2:3]
	s_cbranch_execz .LBB17_28
; %bb.27:                               ;   in Loop: Header=BB17_9 Depth=1
	v_lshlrev_b32_e32 v20, 2, v21
	ds_read_b32 v24, v20 offset:8200
.LBB17_28:                              ;   in Loop: Header=BB17_9 Depth=1
	s_andn2_saveexec_b64 s[2:3], s[2:3]
	s_cbranch_execz .LBB17_30
; %bb.29:                               ;   in Loop: Header=BB17_9 Depth=1
	s_waitcnt lgkmcnt(0)
	v_add_u32_e32 v24, 10, v15
.LBB17_30:                              ;   in Loop: Header=BB17_9 Depth=1
	s_or_b64 exec, exec, s[2:3]
	v_lshlrev_b32_e32 v20, 2, v23
	ds_read_b32 v20, v20
	s_waitcnt lgkmcnt(1)
	v_add_u32_e32 v25, -1, v24
	v_mov_b32_e32 v21, v23
.LBB17_31:                              ;   in Loop: Header=BB17_9 Depth=1
	s_or_b64 exec, exec, s[0:1]
	v_add_u32_e32 v23, 3, v15
	v_cmp_eq_u32_e32 vcc, v23, v25
	s_waitcnt lgkmcnt(0)
	v_mov_b32_e32 v23, v20
	s_and_saveexec_b64 s[0:1], vcc
	s_cbranch_execz .LBB17_37
; %bb.32:                               ;   in Loop: Header=BB17_9 Depth=1
	v_add_u32_e32 v24, 1, v21
	v_cmp_ne_u32_e32 vcc, s4, v24
                                        ; implicit-def: $vgpr25
	s_and_saveexec_b64 s[2:3], vcc
	s_xor_b64 s[2:3], exec, s[2:3]
	s_cbranch_execz .LBB17_34
; %bb.33:                               ;   in Loop: Header=BB17_9 Depth=1
	v_lshlrev_b32_e32 v21, 2, v21
	ds_read_b32 v25, v21 offset:8200
.LBB17_34:                              ;   in Loop: Header=BB17_9 Depth=1
	s_andn2_saveexec_b64 s[2:3], s[2:3]
	s_cbranch_execz .LBB17_36
; %bb.35:                               ;   in Loop: Header=BB17_9 Depth=1
	s_waitcnt lgkmcnt(0)
	v_add_u32_e32 v25, 11, v15
.LBB17_36:                              ;   in Loop: Header=BB17_9 Depth=1
	s_or_b64 exec, exec, s[2:3]
	v_lshlrev_b32_e32 v21, 2, v24
	ds_read_b32 v23, v21
	s_waitcnt lgkmcnt(1)
	v_add_u32_e32 v25, -1, v25
	v_mov_b32_e32 v21, v24
.LBB17_37:                              ;   in Loop: Header=BB17_9 Depth=1
	s_or_b64 exec, exec, s[0:1]
	v_add_u32_e32 v24, 4, v15
	v_cmp_eq_u32_e32 vcc, v24, v25
	s_waitcnt lgkmcnt(0)
	v_mov_b32_e32 v24, v23
	s_and_saveexec_b64 s[0:1], vcc
	s_cbranch_execz .LBB17_43
; %bb.38:                               ;   in Loop: Header=BB17_9 Depth=1
	v_add_u32_e32 v26, 1, v21
	v_cmp_ne_u32_e32 vcc, s4, v26
                                        ; implicit-def: $vgpr25
	s_and_saveexec_b64 s[2:3], vcc
	s_xor_b64 s[2:3], exec, s[2:3]
	s_cbranch_execz .LBB17_40
; %bb.39:                               ;   in Loop: Header=BB17_9 Depth=1
	v_lshlrev_b32_e32 v21, 2, v21
	ds_read_b32 v25, v21 offset:8200
.LBB17_40:                              ;   in Loop: Header=BB17_9 Depth=1
	s_andn2_saveexec_b64 s[2:3], s[2:3]
	s_cbranch_execz .LBB17_42
; %bb.41:                               ;   in Loop: Header=BB17_9 Depth=1
	s_waitcnt lgkmcnt(0)
	v_add_u32_e32 v25, 12, v15
.LBB17_42:                              ;   in Loop: Header=BB17_9 Depth=1
	s_or_b64 exec, exec, s[2:3]
	v_lshlrev_b32_e32 v21, 2, v26
	ds_read_b32 v24, v21
	s_waitcnt lgkmcnt(1)
	v_add_u32_e32 v25, -1, v25
	v_mov_b32_e32 v21, v26
.LBB17_43:                              ;   in Loop: Header=BB17_9 Depth=1
	;; [unrolled: 31-line block ×3, first 2 shown]
	s_or_b64 exec, exec, s[0:1]
	v_add_u32_e32 v15, 6, v15
	v_cmp_eq_u32_e32 vcc, v15, v25
	s_waitcnt lgkmcnt(0)
	v_mov_b32_e32 v15, v26
	s_and_saveexec_b64 s[0:1], vcc
	s_cbranch_execz .LBB17_51
; %bb.50:                               ;   in Loop: Header=BB17_9 Depth=1
	v_lshlrev_b32_e32 v15, 2, v21
	ds_read_b32 v15, v15 offset:4
.LBB17_51:                              ;   in Loop: Header=BB17_9 Depth=1
	s_or_b64 exec, exec, s[0:1]
	s_min_u32 s2, s5, 0x800
	v_cmp_gt_u32_e32 vcc, s2, v18
	s_and_saveexec_b64 s[0:1], vcc
	s_cbranch_execnz .LBB17_59
; %bb.52:                               ;   in Loop: Header=BB17_9 Depth=1
	s_or_b64 exec, exec, s[0:1]
	v_cmp_gt_u32_e32 vcc, s2, v3
	s_and_saveexec_b64 s[0:1], vcc
	s_cbranch_execnz .LBB17_60
.LBB17_53:                              ;   in Loop: Header=BB17_9 Depth=1
	s_or_b64 exec, exec, s[0:1]
	v_cmp_gt_u32_e32 vcc, s2, v4
	s_and_saveexec_b64 s[0:1], vcc
	s_cbranch_execnz .LBB17_61
.LBB17_54:                              ;   in Loop: Header=BB17_9 Depth=1
	s_or_b64 exec, exec, s[0:1]
	v_cmp_gt_u32_e32 vcc, s2, v5
	s_and_saveexec_b64 s[0:1], vcc
	s_cbranch_execnz .LBB17_62
.LBB17_55:                              ;   in Loop: Header=BB17_9 Depth=1
	s_or_b64 exec, exec, s[0:1]
	v_cmp_gt_u32_e32 vcc, s2, v6
	s_and_saveexec_b64 s[0:1], vcc
	s_cbranch_execnz .LBB17_63
.LBB17_56:                              ;   in Loop: Header=BB17_9 Depth=1
	s_or_b64 exec, exec, s[0:1]
	v_cmp_gt_u32_e32 vcc, s2, v7
	s_and_saveexec_b64 s[0:1], vcc
	s_cbranch_execnz .LBB17_64
.LBB17_57:                              ;   in Loop: Header=BB17_9 Depth=1
	s_or_b64 exec, exec, s[0:1]
	v_cmp_gt_u32_e32 vcc, s2, v8
	s_and_saveexec_b64 s[0:1], vcc
	s_cbranch_execnz .LBB17_65
.LBB17_58:                              ;   in Loop: Header=BB17_9 Depth=1
	s_or_b64 exec, exec, s[0:1]
	v_cmp_gt_u32_e32 vcc, s2, v9
	s_and_saveexec_b64 s[0:1], vcc
	s_cbranch_execz .LBB17_8
	s_branch .LBB17_66
.LBB17_59:                              ;   in Loop: Header=BB17_9 Depth=1
	global_store_dword v[0:1], v16, off offset:-28
	s_or_b64 exec, exec, s[0:1]
	v_cmp_gt_u32_e32 vcc, s2, v3
	s_and_saveexec_b64 s[0:1], vcc
	s_cbranch_execz .LBB17_53
.LBB17_60:                              ;   in Loop: Header=BB17_9 Depth=1
	global_store_dword v[0:1], v17, off offset:-24
	s_or_b64 exec, exec, s[0:1]
	v_cmp_gt_u32_e32 vcc, s2, v4
	s_and_saveexec_b64 s[0:1], vcc
	s_cbranch_execz .LBB17_54
.LBB17_61:                              ;   in Loop: Header=BB17_9 Depth=1
	global_store_dword v[0:1], v19, off offset:-20
	s_or_b64 exec, exec, s[0:1]
	v_cmp_gt_u32_e32 vcc, s2, v5
	s_and_saveexec_b64 s[0:1], vcc
	s_cbranch_execz .LBB17_55
.LBB17_62:                              ;   in Loop: Header=BB17_9 Depth=1
	global_store_dword v[0:1], v20, off offset:-16
	s_or_b64 exec, exec, s[0:1]
	v_cmp_gt_u32_e32 vcc, s2, v6
	s_and_saveexec_b64 s[0:1], vcc
	s_cbranch_execz .LBB17_56
.LBB17_63:                              ;   in Loop: Header=BB17_9 Depth=1
	global_store_dword v[0:1], v23, off offset:-12
	s_or_b64 exec, exec, s[0:1]
	v_cmp_gt_u32_e32 vcc, s2, v7
	s_and_saveexec_b64 s[0:1], vcc
	s_cbranch_execz .LBB17_57
.LBB17_64:                              ;   in Loop: Header=BB17_9 Depth=1
	global_store_dword v[0:1], v24, off offset:-8
	s_or_b64 exec, exec, s[0:1]
	v_cmp_gt_u32_e32 vcc, s2, v8
	s_and_saveexec_b64 s[0:1], vcc
	s_cbranch_execz .LBB17_58
.LBB17_65:                              ;   in Loop: Header=BB17_9 Depth=1
	global_store_dword v[0:1], v26, off offset:-4
	s_or_b64 exec, exec, s[0:1]
	v_cmp_gt_u32_e32 vcc, s2, v9
	s_and_saveexec_b64 s[0:1], vcc
	s_cbranch_execz .LBB17_8
.LBB17_66:                              ;   in Loop: Header=BB17_9 Depth=1
	s_waitcnt lgkmcnt(0)
	global_store_dword v[0:1], v15, off
	s_branch .LBB17_8
.LBB17_67:
	s_endpgm
	.section	.rodata,"a",@progbits
	.p2align	6, 0x0
	.amdhsa_kernel _Z30block_run_length_decode_kernelIiiLj256ELj8ELj8EEvPKT_PKT0_PS0_
		.amdhsa_group_segment_fixed_size 16384
		.amdhsa_private_segment_fixed_size 0
		.amdhsa_kernarg_size 24
		.amdhsa_user_sgpr_count 6
		.amdhsa_user_sgpr_private_segment_buffer 1
		.amdhsa_user_sgpr_dispatch_ptr 0
		.amdhsa_user_sgpr_queue_ptr 0
		.amdhsa_user_sgpr_kernarg_segment_ptr 1
		.amdhsa_user_sgpr_dispatch_id 0
		.amdhsa_user_sgpr_flat_scratch_init 0
		.amdhsa_user_sgpr_kernarg_preload_length 0
		.amdhsa_user_sgpr_kernarg_preload_offset 0
		.amdhsa_user_sgpr_private_segment_size 0
		.amdhsa_uses_dynamic_stack 0
		.amdhsa_system_sgpr_private_segment_wavefront_offset 0
		.amdhsa_system_sgpr_workgroup_id_x 1
		.amdhsa_system_sgpr_workgroup_id_y 0
		.amdhsa_system_sgpr_workgroup_id_z 0
		.amdhsa_system_sgpr_workgroup_info 0
		.amdhsa_system_vgpr_workitem_id 0
		.amdhsa_next_free_vgpr 28
		.amdhsa_next_free_sgpr 8
		.amdhsa_accum_offset 28
		.amdhsa_reserve_vcc 1
		.amdhsa_reserve_flat_scratch 0
		.amdhsa_float_round_mode_32 0
		.amdhsa_float_round_mode_16_64 0
		.amdhsa_float_denorm_mode_32 3
		.amdhsa_float_denorm_mode_16_64 3
		.amdhsa_dx10_clamp 1
		.amdhsa_ieee_mode 1
		.amdhsa_fp16_overflow 0
		.amdhsa_tg_split 0
		.amdhsa_exception_fp_ieee_invalid_op 0
		.amdhsa_exception_fp_denorm_src 0
		.amdhsa_exception_fp_ieee_div_zero 0
		.amdhsa_exception_fp_ieee_overflow 0
		.amdhsa_exception_fp_ieee_underflow 0
		.amdhsa_exception_fp_ieee_inexact 0
		.amdhsa_exception_int_div_zero 0
	.end_amdhsa_kernel
	.section	.text._Z30block_run_length_decode_kernelIiiLj256ELj8ELj8EEvPKT_PKT0_PS0_,"axG",@progbits,_Z30block_run_length_decode_kernelIiiLj256ELj8ELj8EEvPKT_PKT0_PS0_,comdat
.Lfunc_end17:
	.size	_Z30block_run_length_decode_kernelIiiLj256ELj8ELj8EEvPKT_PKT0_PS0_, .Lfunc_end17-_Z30block_run_length_decode_kernelIiiLj256ELj8ELj8EEvPKT_PKT0_PS0_
                                        ; -- End function
	.section	.AMDGPU.csdata,"",@progbits
; Kernel info:
; codeLenInByte = 2600
; NumSgprs: 12
; NumVgprs: 28
; NumAgprs: 0
; TotalNumVgprs: 28
; ScratchSize: 0
; MemoryBound: 0
; FloatMode: 240
; IeeeMode: 1
; LDSByteSize: 16384 bytes/workgroup (compile time only)
; SGPRBlocks: 1
; VGPRBlocks: 3
; NumSGPRsForWavesPerEU: 12
; NumVGPRsForWavesPerEU: 28
; AccumOffset: 28
; Occupancy: 4
; WaveLimiterHint : 0
; COMPUTE_PGM_RSRC2:SCRATCH_EN: 0
; COMPUTE_PGM_RSRC2:USER_SGPR: 6
; COMPUTE_PGM_RSRC2:TRAP_HANDLER: 0
; COMPUTE_PGM_RSRC2:TGID_X_EN: 1
; COMPUTE_PGM_RSRC2:TGID_Y_EN: 0
; COMPUTE_PGM_RSRC2:TGID_Z_EN: 0
; COMPUTE_PGM_RSRC2:TIDIG_COMP_CNT: 0
; COMPUTE_PGM_RSRC3_GFX90A:ACCUM_OFFSET: 6
; COMPUTE_PGM_RSRC3_GFX90A:TG_SPLIT: 0
	.section	.text._Z30block_run_length_decode_kernelI12hip_bfloat16iLj256ELj4ELj4EEvPKT_PKT0_PS1_,"axG",@progbits,_Z30block_run_length_decode_kernelI12hip_bfloat16iLj256ELj4ELj4EEvPKT_PKT0_PS1_,comdat
	.protected	_Z30block_run_length_decode_kernelI12hip_bfloat16iLj256ELj4ELj4EEvPKT_PKT0_PS1_ ; -- Begin function _Z30block_run_length_decode_kernelI12hip_bfloat16iLj256ELj4ELj4EEvPKT_PKT0_PS1_
	.globl	_Z30block_run_length_decode_kernelI12hip_bfloat16iLj256ELj4ELj4EEvPKT_PKT0_PS1_
	.p2align	8
	.type	_Z30block_run_length_decode_kernelI12hip_bfloat16iLj256ELj4ELj4EEvPKT_PKT0_PS1_,@function
_Z30block_run_length_decode_kernelI12hip_bfloat16iLj256ELj4ELj4EEvPKT_PKT0_PS1_: ; @_Z30block_run_length_decode_kernelI12hip_bfloat16iLj256ELj4ELj4EEvPKT_PKT0_PS1_
; %bb.0:
	s_load_dwordx4 s[0:3], s[4:5], 0x0
	v_lshlrev_b32_e32 v12, 2, v0
	v_lshl_or_b32 v6, s6, 10, v12
	v_mov_b32_e32 v7, 0
	v_lshlrev_b64 v[2:3], 2, v[6:7]
	s_waitcnt lgkmcnt(0)
	v_mov_b32_e32 v1, s3
	v_add_co_u32_e32 v2, vcc, s2, v2
	v_addc_co_u32_e32 v3, vcc, v1, v3, vcc
	global_load_dwordx4 v[2:5], v[2:3], off
	v_lshlrev_b64 v[8:9], 1, v[6:7]
	v_mov_b32_e32 v1, s1
	v_add_co_u32_e32 v10, vcc, s0, v8
	v_addc_co_u32_e32 v11, vcc, v1, v9, vcc
	global_load_dwordx2 v[10:11], v[10:11], off
	v_mbcnt_lo_u32_b32 v1, -1, 0
	v_mbcnt_hi_u32_b32 v1, -1, v1
	v_and_b32_e32 v14, 15, v1
	v_cmp_ne_u32_e32 vcc, 0, v14
	v_bfe_i32 v15, v1, 4, 1
	v_or_b32_e32 v13, 63, v0
	v_lshrrev_b32_e32 v7, 6, v0
	s_waitcnt vmcnt(1)
	v_add_u32_e32 v16, v3, v2
	v_add3_u32 v5, v16, v4, v5
	s_nop 1
	v_mov_b32_dpp v16, v5 row_shr:1 row_mask:0xf bank_mask:0xf
	v_cndmask_b32_e32 v16, 0, v16, vcc
	v_add_u32_e32 v5, v16, v5
	v_cmp_lt_u32_e32 vcc, 1, v14
	s_nop 0
	v_mov_b32_dpp v16, v5 row_shr:2 row_mask:0xf bank_mask:0xf
	v_cndmask_b32_e32 v16, 0, v16, vcc
	v_add_u32_e32 v5, v5, v16
	v_cmp_lt_u32_e32 vcc, 3, v14
	;; [unrolled: 5-line block ×4, first 2 shown]
	s_nop 0
	v_mov_b32_dpp v14, v5 row_bcast:15 row_mask:0xf bank_mask:0xf
	v_and_b32_e32 v14, v15, v14
	v_add_u32_e32 v5, v5, v14
	s_nop 1
	v_mov_b32_dpp v14, v5 row_bcast:31 row_mask:0xf bank_mask:0xf
	v_cndmask_b32_e32 v14, 0, v14, vcc
	v_add_u32_e32 v5, v5, v14
	v_cmp_eq_u32_e32 vcc, v13, v0
	s_and_saveexec_b64 s[0:1], vcc
	s_cbranch_execz .LBB18_2
; %bb.1:
	v_lshlrev_b32_e32 v13, 2, v7
	ds_write_b32 v13, v5
.LBB18_2:
	s_or_b64 exec, exec, s[0:1]
	v_cmp_gt_u32_e32 vcc, 4, v0
	s_waitcnt lgkmcnt(0)
	s_barrier
	s_and_saveexec_b64 s[0:1], vcc
	s_cbranch_execz .LBB18_4
; %bb.3:
	ds_read_b32 v13, v12
	v_and_b32_e32 v14, 3, v1
	v_cmp_ne_u32_e32 vcc, 0, v14
	s_waitcnt lgkmcnt(0)
	v_mov_b32_dpp v15, v13 row_shr:1 row_mask:0xf bank_mask:0xf
	v_cndmask_b32_e32 v15, 0, v15, vcc
	v_add_u32_e32 v13, v15, v13
	v_cmp_lt_u32_e32 vcc, 1, v14
	s_nop 0
	v_mov_b32_dpp v15, v13 row_shr:2 row_mask:0xf bank_mask:0xf
	v_cndmask_b32_e32 v14, 0, v15, vcc
	v_add_u32_e32 v13, v13, v14
	ds_write_b32 v12, v13
.LBB18_4:
	s_or_b64 exec, exec, s[0:1]
	v_cmp_lt_u32_e32 vcc, 63, v0
	v_mov_b32_e32 v13, 0
	v_mov_b32_e32 v14, 0
	s_waitcnt lgkmcnt(0)
	s_barrier
	s_and_saveexec_b64 s[0:1], vcc
	s_cbranch_execz .LBB18_6
; %bb.5:
	v_lshl_add_u32 v7, v7, 2, -4
	ds_read_b32 v14, v7
.LBB18_6:
	s_or_b64 exec, exec, s[0:1]
	v_add_u32_e32 v7, -1, v1
	v_and_b32_e32 v15, 64, v1
	v_cmp_lt_i32_e32 vcc, v7, v15
	v_cndmask_b32_e32 v7, v7, v1, vcc
	s_waitcnt lgkmcnt(0)
	v_add_u32_e32 v5, v14, v5
	v_lshlrev_b32_e32 v7, 2, v7
	ds_bpermute_b32 v5, v7, v5
	v_cmp_eq_u32_e32 vcc, 0, v1
	v_lshlrev_b32_e32 v7, 2, v12
	s_mov_b32 s6, 0
	s_waitcnt lgkmcnt(0)
	v_cndmask_b32_e32 v1, v5, v14, vcc
	ds_read_b32 v5, v13 offset:12
	v_cmp_ne_u32_e32 vcc, 0, v0
	v_cndmask_b32_e32 v0, 0, v1, vcc
	v_add_u32_e32 v1, v0, v2
	v_add_u32_e32 v2, v1, v3
	s_waitcnt lgkmcnt(0)
	v_cmp_eq_u32_e32 vcc, 0, v5
	v_add_u32_e32 v3, v2, v4
	v_readfirstlane_b32 s7, v5
	v_lshlrev_b32_e32 v4, 1, v12
	v_add_u32_e32 v13, 0x800, v7
	s_and_b64 vcc, exec, vcc
	s_barrier
	ds_write2_b32 v13, v0, v1 offset1:1
	v_add_u32_e32 v0, 0x808, v7
	s_waitcnt vmcnt(0)
	ds_write_b64 v4, v[10:11]
	ds_write2_b32 v0, v2, v3 offset1:1
	s_waitcnt lgkmcnt(0)
	s_barrier
	s_cbranch_vccnz .LBB18_35
; %bb.7:
	s_load_dwordx2 s[0:1], s[4:5], 0x10
	v_mov_b32_e32 v0, 0
	ds_read_b32 v2, v0 offset:4096
	v_or_b32_e32 v3, 1, v6
	v_or_b32_e32 v4, 2, v6
	s_waitcnt lgkmcnt(0)
	v_mov_b32_e32 v0, s1
	v_add_co_u32_e32 v1, vcc, s0, v8
	v_addc_co_u32_e32 v7, vcc, v9, v0, vcc
	v_add_co_u32_e32 v0, vcc, 4, v1
	v_or_b32_e32 v5, 3, v6
	v_addc_co_u32_e32 v1, vcc, 0, v7, vcc
	v_mov_b32_e32 v7, 0x201
	v_mov_b32_e32 v8, 0x400
	v_mov_b32_e32 v9, 0x200
	v_mov_b32_e32 v10, 0x300
	v_mov_b32_e32 v11, 0x100
	s_movk_i32 s4, 0x3ff
	s_mov_b32 s5, s7
	s_branch .LBB18_9
.LBB18_8:                               ;   in Loop: Header=BB18_9 Depth=1
	s_or_b64 exec, exec, s[0:1]
	s_addk_i32 s6, 0x400
	s_addk_i32 s5, 0xfc00
	v_add_co_u32_e32 v0, vcc, 0x800, v0
	s_cmp_lt_u32 s6, s7
	v_addc_co_u32_e32 v1, vcc, 0, v1, vcc
	s_cbranch_scc0 .LBB18_35
.LBB18_9:                               ; =>This Inner Loop Header: Depth=1
	s_waitcnt lgkmcnt(0)
	v_add_u32_e32 v13, s6, v12
	v_cmp_gt_u32_e32 vcc, v2, v13
	v_cndmask_b32_e32 v15, v10, v11, vcc
	v_lshlrev_b32_e32 v16, 2, v15
	ds_read_b32 v16, v16 offset:2048
	v_cndmask_b32_e64 v14, v7, 0, vcc
	v_cndmask_b32_e32 v17, v8, v9, vcc
	v_or_b32_e32 v18, 1, v15
	s_waitcnt lgkmcnt(0)
	v_cmp_gt_u32_e32 vcc, v16, v13
	v_cndmask_b32_e32 v14, v18, v14, vcc
	v_cndmask_b32_e32 v15, v17, v15, vcc
	v_sub_u32_e32 v16, v15, v14
	v_lshrrev_b16_e32 v17, 15, v16
	v_add_u16_e32 v16, v16, v17
	v_ashrrev_i16_e32 v16, 1, v16
	v_add_u32_sdwa v16, v14, sext(v16) dst_sel:DWORD dst_unused:UNUSED_PAD src0_sel:DWORD src1_sel:WORD_0
	v_min_i32_e32 v16, 0x3ff, v16
	v_lshlrev_b32_e32 v17, 2, v16
	ds_read_b32 v17, v17 offset:2048
	v_add_u32_e32 v18, 1, v16
	s_waitcnt lgkmcnt(0)
	v_cmp_gt_u32_e32 vcc, v17, v13
	v_cndmask_b32_e32 v14, v18, v14, vcc
	v_cndmask_b32_e32 v15, v15, v16, vcc
	v_sub_u32_e32 v16, v15, v14
	v_lshrrev_b16_e32 v17, 15, v16
	v_add_u16_e32 v16, v16, v17
	v_ashrrev_i16_e32 v16, 1, v16
	v_add_u32_sdwa v16, v14, sext(v16) dst_sel:DWORD dst_unused:UNUSED_PAD src0_sel:DWORD src1_sel:WORD_0
	v_min_i32_e32 v16, 0x3ff, v16
	v_lshlrev_b32_e32 v17, 2, v16
	ds_read_b32 v17, v17 offset:2048
	v_add_u32_e32 v18, 1, v16
	;; [unrolled: 13-line block ×9, first 2 shown]
	s_waitcnt lgkmcnt(0)
	v_cmp_gt_u32_e32 vcc, v16, v13
	v_cndmask_b32_e32 v17, v15, v14, vcc
	v_add_u32_e32 v16, -1, v17
	v_cmp_ne_u32_e32 vcc, s4, v16
                                        ; implicit-def: $vgpr15
	s_and_saveexec_b64 s[0:1], vcc
	s_xor_b64 s[0:1], exec, s[0:1]
	s_cbranch_execz .LBB18_11
; %bb.10:                               ;   in Loop: Header=BB18_9 Depth=1
	v_lshlrev_b32_e32 v14, 2, v17
	ds_read_b32 v15, v14 offset:2048
.LBB18_11:                              ;   in Loop: Header=BB18_9 Depth=1
	s_andn2_saveexec_b64 s[0:1], s[0:1]
	s_cbranch_execz .LBB18_13
; %bb.12:                               ;   in Loop: Header=BB18_9 Depth=1
	s_waitcnt lgkmcnt(0)
	v_add_u32_e32 v15, 4, v13
.LBB18_13:                              ;   in Loop: Header=BB18_9 Depth=1
	s_or_b64 exec, exec, s[0:1]
	v_lshlrev_b32_e32 v14, 1, v16
	ds_read_u16 v14, v14
	s_waitcnt lgkmcnt(1)
	v_add_u32_e32 v18, -1, v15
	v_cmp_eq_u32_e32 vcc, v13, v18
	s_waitcnt lgkmcnt(0)
	v_mov_b32_e32 v15, v14
	s_and_saveexec_b64 s[0:1], vcc
	s_cbranch_execz .LBB18_19
; %bb.14:                               ;   in Loop: Header=BB18_9 Depth=1
	v_cmp_ne_u32_e32 vcc, s4, v17
                                        ; implicit-def: $vgpr16
	s_and_saveexec_b64 s[2:3], vcc
	s_xor_b64 s[2:3], exec, s[2:3]
	s_cbranch_execz .LBB18_16
; %bb.15:                               ;   in Loop: Header=BB18_9 Depth=1
	v_lshlrev_b32_e32 v15, 2, v17
	ds_read_b32 v16, v15 offset:2052
.LBB18_16:                              ;   in Loop: Header=BB18_9 Depth=1
	s_andn2_saveexec_b64 s[2:3], s[2:3]
	s_cbranch_execz .LBB18_18
; %bb.17:                               ;   in Loop: Header=BB18_9 Depth=1
	s_waitcnt lgkmcnt(0)
	v_add_u32_e32 v16, 4, v13
.LBB18_18:                              ;   in Loop: Header=BB18_9 Depth=1
	s_or_b64 exec, exec, s[2:3]
	v_lshlrev_b32_e32 v15, 1, v17
	ds_read_u16 v15, v15
	s_waitcnt lgkmcnt(1)
	v_add_u32_e32 v18, -1, v16
	v_mov_b32_e32 v16, v17
.LBB18_19:                              ;   in Loop: Header=BB18_9 Depth=1
	s_or_b64 exec, exec, s[0:1]
	v_add_u32_e32 v17, 1, v13
	v_cmp_eq_u32_e32 vcc, v17, v18
	s_waitcnt lgkmcnt(0)
	v_mov_b32_e32 v17, v15
	s_and_saveexec_b64 s[0:1], vcc
	s_cbranch_execz .LBB18_25
; %bb.20:                               ;   in Loop: Header=BB18_9 Depth=1
	v_add_u32_e32 v19, 1, v16
	v_cmp_ne_u32_e32 vcc, s4, v19
                                        ; implicit-def: $vgpr18
	s_and_saveexec_b64 s[2:3], vcc
	s_xor_b64 s[2:3], exec, s[2:3]
	s_cbranch_execz .LBB18_22
; %bb.21:                               ;   in Loop: Header=BB18_9 Depth=1
	v_lshlrev_b32_e32 v16, 2, v16
	ds_read_b32 v18, v16 offset:2056
.LBB18_22:                              ;   in Loop: Header=BB18_9 Depth=1
	s_andn2_saveexec_b64 s[2:3], s[2:3]
	s_cbranch_execz .LBB18_24
; %bb.23:                               ;   in Loop: Header=BB18_9 Depth=1
	s_waitcnt lgkmcnt(0)
	v_add_u32_e32 v18, 5, v13
.LBB18_24:                              ;   in Loop: Header=BB18_9 Depth=1
	s_or_b64 exec, exec, s[2:3]
	v_lshlrev_b32_e32 v16, 1, v19
	ds_read_u16 v17, v16
	s_waitcnt lgkmcnt(1)
	v_add_u32_e32 v18, -1, v18
	v_mov_b32_e32 v16, v19
.LBB18_25:                              ;   in Loop: Header=BB18_9 Depth=1
	s_or_b64 exec, exec, s[0:1]
	v_add_u32_e32 v13, 2, v13
	v_cmp_eq_u32_e32 vcc, v13, v18
	s_waitcnt lgkmcnt(0)
	v_mov_b32_e32 v13, v17
	s_and_saveexec_b64 s[0:1], vcc
	s_cbranch_execz .LBB18_27
; %bb.26:                               ;   in Loop: Header=BB18_9 Depth=1
	v_lshlrev_b32_e32 v13, 1, v16
	ds_read_u16 v13, v13 offset:2
.LBB18_27:                              ;   in Loop: Header=BB18_9 Depth=1
	s_or_b64 exec, exec, s[0:1]
	s_min_u32 s2, s5, 0x400
	v_cmp_gt_u32_e32 vcc, s2, v6
	s_and_saveexec_b64 s[0:1], vcc
	s_cbranch_execnz .LBB18_31
; %bb.28:                               ;   in Loop: Header=BB18_9 Depth=1
	s_or_b64 exec, exec, s[0:1]
	v_cmp_gt_u32_e32 vcc, s2, v3
	s_and_saveexec_b64 s[0:1], vcc
	s_cbranch_execnz .LBB18_32
.LBB18_29:                              ;   in Loop: Header=BB18_9 Depth=1
	s_or_b64 exec, exec, s[0:1]
	v_cmp_gt_u32_e32 vcc, s2, v4
	s_and_saveexec_b64 s[0:1], vcc
	s_cbranch_execnz .LBB18_33
.LBB18_30:                              ;   in Loop: Header=BB18_9 Depth=1
	s_or_b64 exec, exec, s[0:1]
	v_cmp_gt_u32_e32 vcc, s2, v5
	s_and_saveexec_b64 s[0:1], vcc
	s_cbranch_execz .LBB18_8
	s_branch .LBB18_34
.LBB18_31:                              ;   in Loop: Header=BB18_9 Depth=1
	global_store_short v[0:1], v14, off offset:-4
	s_or_b64 exec, exec, s[0:1]
	v_cmp_gt_u32_e32 vcc, s2, v3
	s_and_saveexec_b64 s[0:1], vcc
	s_cbranch_execz .LBB18_29
.LBB18_32:                              ;   in Loop: Header=BB18_9 Depth=1
	global_store_short v[0:1], v15, off offset:-2
	s_or_b64 exec, exec, s[0:1]
	v_cmp_gt_u32_e32 vcc, s2, v4
	s_and_saveexec_b64 s[0:1], vcc
	s_cbranch_execz .LBB18_30
.LBB18_33:                              ;   in Loop: Header=BB18_9 Depth=1
	global_store_short v[0:1], v17, off
	s_or_b64 exec, exec, s[0:1]
	v_cmp_gt_u32_e32 vcc, s2, v5
	s_and_saveexec_b64 s[0:1], vcc
	s_cbranch_execz .LBB18_8
.LBB18_34:                              ;   in Loop: Header=BB18_9 Depth=1
	s_waitcnt lgkmcnt(0)
	global_store_short v[0:1], v13, off offset:2
	s_branch .LBB18_8
.LBB18_35:
	s_endpgm
	.section	.rodata,"a",@progbits
	.p2align	6, 0x0
	.amdhsa_kernel _Z30block_run_length_decode_kernelI12hip_bfloat16iLj256ELj4ELj4EEvPKT_PKT0_PS1_
		.amdhsa_group_segment_fixed_size 6144
		.amdhsa_private_segment_fixed_size 0
		.amdhsa_kernarg_size 24
		.amdhsa_user_sgpr_count 6
		.amdhsa_user_sgpr_private_segment_buffer 1
		.amdhsa_user_sgpr_dispatch_ptr 0
		.amdhsa_user_sgpr_queue_ptr 0
		.amdhsa_user_sgpr_kernarg_segment_ptr 1
		.amdhsa_user_sgpr_dispatch_id 0
		.amdhsa_user_sgpr_flat_scratch_init 0
		.amdhsa_user_sgpr_kernarg_preload_length 0
		.amdhsa_user_sgpr_kernarg_preload_offset 0
		.amdhsa_user_sgpr_private_segment_size 0
		.amdhsa_uses_dynamic_stack 0
		.amdhsa_system_sgpr_private_segment_wavefront_offset 0
		.amdhsa_system_sgpr_workgroup_id_x 1
		.amdhsa_system_sgpr_workgroup_id_y 0
		.amdhsa_system_sgpr_workgroup_id_z 0
		.amdhsa_system_sgpr_workgroup_info 0
		.amdhsa_system_vgpr_workitem_id 0
		.amdhsa_next_free_vgpr 20
		.amdhsa_next_free_sgpr 8
		.amdhsa_accum_offset 20
		.amdhsa_reserve_vcc 1
		.amdhsa_reserve_flat_scratch 0
		.amdhsa_float_round_mode_32 0
		.amdhsa_float_round_mode_16_64 0
		.amdhsa_float_denorm_mode_32 3
		.amdhsa_float_denorm_mode_16_64 3
		.amdhsa_dx10_clamp 1
		.amdhsa_ieee_mode 1
		.amdhsa_fp16_overflow 0
		.amdhsa_tg_split 0
		.amdhsa_exception_fp_ieee_invalid_op 0
		.amdhsa_exception_fp_denorm_src 0
		.amdhsa_exception_fp_ieee_div_zero 0
		.amdhsa_exception_fp_ieee_overflow 0
		.amdhsa_exception_fp_ieee_underflow 0
		.amdhsa_exception_fp_ieee_inexact 0
		.amdhsa_exception_int_div_zero 0
	.end_amdhsa_kernel
	.section	.text._Z30block_run_length_decode_kernelI12hip_bfloat16iLj256ELj4ELj4EEvPKT_PKT0_PS1_,"axG",@progbits,_Z30block_run_length_decode_kernelI12hip_bfloat16iLj256ELj4ELj4EEvPKT_PKT0_PS1_,comdat
.Lfunc_end18:
	.size	_Z30block_run_length_decode_kernelI12hip_bfloat16iLj256ELj4ELj4EEvPKT_PKT0_PS1_, .Lfunc_end18-_Z30block_run_length_decode_kernelI12hip_bfloat16iLj256ELj4ELj4EEvPKT_PKT0_PS1_
                                        ; -- End function
	.section	.AMDGPU.csdata,"",@progbits
; Kernel info:
; codeLenInByte = 1856
; NumSgprs: 12
; NumVgprs: 20
; NumAgprs: 0
; TotalNumVgprs: 20
; ScratchSize: 0
; MemoryBound: 0
; FloatMode: 240
; IeeeMode: 1
; LDSByteSize: 6144 bytes/workgroup (compile time only)
; SGPRBlocks: 1
; VGPRBlocks: 2
; NumSGPRsForWavesPerEU: 12
; NumVGPRsForWavesPerEU: 20
; AccumOffset: 20
; Occupancy: 8
; WaveLimiterHint : 0
; COMPUTE_PGM_RSRC2:SCRATCH_EN: 0
; COMPUTE_PGM_RSRC2:USER_SGPR: 6
; COMPUTE_PGM_RSRC2:TRAP_HANDLER: 0
; COMPUTE_PGM_RSRC2:TGID_X_EN: 1
; COMPUTE_PGM_RSRC2:TGID_Y_EN: 0
; COMPUTE_PGM_RSRC2:TGID_Z_EN: 0
; COMPUTE_PGM_RSRC2:TIDIG_COMP_CNT: 0
; COMPUTE_PGM_RSRC3_GFX90A:ACCUM_OFFSET: 4
; COMPUTE_PGM_RSRC3_GFX90A:TG_SPLIT: 0
	.section	.text._Z30block_run_length_decode_kernelI6__halfiLj256ELj4ELj4EEvPKT_PKT0_PS1_,"axG",@progbits,_Z30block_run_length_decode_kernelI6__halfiLj256ELj4ELj4EEvPKT_PKT0_PS1_,comdat
	.protected	_Z30block_run_length_decode_kernelI6__halfiLj256ELj4ELj4EEvPKT_PKT0_PS1_ ; -- Begin function _Z30block_run_length_decode_kernelI6__halfiLj256ELj4ELj4EEvPKT_PKT0_PS1_
	.globl	_Z30block_run_length_decode_kernelI6__halfiLj256ELj4ELj4EEvPKT_PKT0_PS1_
	.p2align	8
	.type	_Z30block_run_length_decode_kernelI6__halfiLj256ELj4ELj4EEvPKT_PKT0_PS1_,@function
_Z30block_run_length_decode_kernelI6__halfiLj256ELj4ELj4EEvPKT_PKT0_PS1_: ; @_Z30block_run_length_decode_kernelI6__halfiLj256ELj4ELj4EEvPKT_PKT0_PS1_
; %bb.0:
	s_load_dwordx4 s[0:3], s[4:5], 0x0
	v_lshlrev_b32_e32 v12, 2, v0
	v_lshl_or_b32 v6, s6, 10, v12
	v_mov_b32_e32 v7, 0
	v_lshlrev_b64 v[2:3], 2, v[6:7]
	s_waitcnt lgkmcnt(0)
	v_mov_b32_e32 v1, s3
	v_add_co_u32_e32 v2, vcc, s2, v2
	v_addc_co_u32_e32 v3, vcc, v1, v3, vcc
	global_load_dwordx4 v[2:5], v[2:3], off
	v_lshlrev_b64 v[8:9], 1, v[6:7]
	v_mov_b32_e32 v1, s1
	v_add_co_u32_e32 v10, vcc, s0, v8
	v_addc_co_u32_e32 v11, vcc, v1, v9, vcc
	global_load_dwordx2 v[10:11], v[10:11], off
	v_mbcnt_lo_u32_b32 v1, -1, 0
	v_mbcnt_hi_u32_b32 v1, -1, v1
	v_and_b32_e32 v14, 15, v1
	v_cmp_ne_u32_e32 vcc, 0, v14
	v_bfe_i32 v15, v1, 4, 1
	v_or_b32_e32 v13, 63, v0
	v_lshrrev_b32_e32 v7, 6, v0
	s_waitcnt vmcnt(1)
	v_add_u32_e32 v16, v3, v2
	v_add3_u32 v5, v16, v4, v5
	s_nop 1
	v_mov_b32_dpp v16, v5 row_shr:1 row_mask:0xf bank_mask:0xf
	v_cndmask_b32_e32 v16, 0, v16, vcc
	v_add_u32_e32 v5, v16, v5
	v_cmp_lt_u32_e32 vcc, 1, v14
	s_nop 0
	v_mov_b32_dpp v16, v5 row_shr:2 row_mask:0xf bank_mask:0xf
	v_cndmask_b32_e32 v16, 0, v16, vcc
	v_add_u32_e32 v5, v5, v16
	v_cmp_lt_u32_e32 vcc, 3, v14
	;; [unrolled: 5-line block ×4, first 2 shown]
	s_nop 0
	v_mov_b32_dpp v14, v5 row_bcast:15 row_mask:0xf bank_mask:0xf
	v_and_b32_e32 v14, v15, v14
	v_add_u32_e32 v5, v5, v14
	s_nop 1
	v_mov_b32_dpp v14, v5 row_bcast:31 row_mask:0xf bank_mask:0xf
	v_cndmask_b32_e32 v14, 0, v14, vcc
	v_add_u32_e32 v5, v5, v14
	v_cmp_eq_u32_e32 vcc, v13, v0
	s_and_saveexec_b64 s[0:1], vcc
	s_cbranch_execz .LBB19_2
; %bb.1:
	v_lshlrev_b32_e32 v13, 2, v7
	ds_write_b32 v13, v5
.LBB19_2:
	s_or_b64 exec, exec, s[0:1]
	v_cmp_gt_u32_e32 vcc, 4, v0
	s_waitcnt lgkmcnt(0)
	s_barrier
	s_and_saveexec_b64 s[0:1], vcc
	s_cbranch_execz .LBB19_4
; %bb.3:
	ds_read_b32 v13, v12
	v_and_b32_e32 v14, 3, v1
	v_cmp_ne_u32_e32 vcc, 0, v14
	s_waitcnt lgkmcnt(0)
	v_mov_b32_dpp v15, v13 row_shr:1 row_mask:0xf bank_mask:0xf
	v_cndmask_b32_e32 v15, 0, v15, vcc
	v_add_u32_e32 v13, v15, v13
	v_cmp_lt_u32_e32 vcc, 1, v14
	s_nop 0
	v_mov_b32_dpp v15, v13 row_shr:2 row_mask:0xf bank_mask:0xf
	v_cndmask_b32_e32 v14, 0, v15, vcc
	v_add_u32_e32 v13, v13, v14
	ds_write_b32 v12, v13
.LBB19_4:
	s_or_b64 exec, exec, s[0:1]
	v_cmp_lt_u32_e32 vcc, 63, v0
	v_mov_b32_e32 v13, 0
	v_mov_b32_e32 v14, 0
	s_waitcnt lgkmcnt(0)
	s_barrier
	s_and_saveexec_b64 s[0:1], vcc
	s_cbranch_execz .LBB19_6
; %bb.5:
	v_lshl_add_u32 v7, v7, 2, -4
	ds_read_b32 v14, v7
.LBB19_6:
	s_or_b64 exec, exec, s[0:1]
	v_add_u32_e32 v7, -1, v1
	v_and_b32_e32 v15, 64, v1
	v_cmp_lt_i32_e32 vcc, v7, v15
	v_cndmask_b32_e32 v7, v7, v1, vcc
	s_waitcnt lgkmcnt(0)
	v_add_u32_e32 v5, v14, v5
	v_lshlrev_b32_e32 v7, 2, v7
	ds_bpermute_b32 v5, v7, v5
	v_cmp_eq_u32_e32 vcc, 0, v1
	v_lshlrev_b32_e32 v7, 2, v12
	s_mov_b32 s6, 0
	s_waitcnt lgkmcnt(0)
	v_cndmask_b32_e32 v1, v5, v14, vcc
	ds_read_b32 v5, v13 offset:12
	v_cmp_ne_u32_e32 vcc, 0, v0
	v_cndmask_b32_e32 v0, 0, v1, vcc
	v_add_u32_e32 v1, v0, v2
	v_add_u32_e32 v2, v1, v3
	s_waitcnt lgkmcnt(0)
	v_cmp_eq_u32_e32 vcc, 0, v5
	v_add_u32_e32 v3, v2, v4
	v_readfirstlane_b32 s7, v5
	v_lshlrev_b32_e32 v4, 1, v12
	v_add_u32_e32 v13, 0x800, v7
	s_and_b64 vcc, exec, vcc
	s_barrier
	ds_write2_b32 v13, v0, v1 offset1:1
	v_add_u32_e32 v0, 0x808, v7
	s_waitcnt vmcnt(0)
	ds_write_b64 v4, v[10:11]
	ds_write2_b32 v0, v2, v3 offset1:1
	s_waitcnt lgkmcnt(0)
	s_barrier
	s_cbranch_vccnz .LBB19_35
; %bb.7:
	s_load_dwordx2 s[0:1], s[4:5], 0x10
	v_mov_b32_e32 v0, 0
	ds_read_b32 v2, v0 offset:4096
	v_or_b32_e32 v3, 1, v6
	v_or_b32_e32 v4, 2, v6
	s_waitcnt lgkmcnt(0)
	v_mov_b32_e32 v0, s1
	v_add_co_u32_e32 v1, vcc, s0, v8
	v_addc_co_u32_e32 v7, vcc, v9, v0, vcc
	v_add_co_u32_e32 v0, vcc, 4, v1
	v_or_b32_e32 v5, 3, v6
	v_addc_co_u32_e32 v1, vcc, 0, v7, vcc
	v_mov_b32_e32 v7, 0x201
	v_mov_b32_e32 v8, 0x400
	;; [unrolled: 1-line block ×5, first 2 shown]
	s_movk_i32 s4, 0x3ff
	s_mov_b32 s5, s7
	s_branch .LBB19_9
.LBB19_8:                               ;   in Loop: Header=BB19_9 Depth=1
	s_or_b64 exec, exec, s[0:1]
	s_addk_i32 s6, 0x400
	s_addk_i32 s5, 0xfc00
	v_add_co_u32_e32 v0, vcc, 0x800, v0
	s_cmp_lt_u32 s6, s7
	v_addc_co_u32_e32 v1, vcc, 0, v1, vcc
	s_cbranch_scc0 .LBB19_35
.LBB19_9:                               ; =>This Inner Loop Header: Depth=1
	s_waitcnt lgkmcnt(0)
	v_add_u32_e32 v13, s6, v12
	v_cmp_gt_u32_e32 vcc, v2, v13
	v_cndmask_b32_e32 v15, v10, v11, vcc
	v_lshlrev_b32_e32 v16, 2, v15
	ds_read_b32 v16, v16 offset:2048
	v_cndmask_b32_e64 v14, v7, 0, vcc
	v_cndmask_b32_e32 v17, v8, v9, vcc
	v_or_b32_e32 v18, 1, v15
	s_waitcnt lgkmcnt(0)
	v_cmp_gt_u32_e32 vcc, v16, v13
	v_cndmask_b32_e32 v14, v18, v14, vcc
	v_cndmask_b32_e32 v15, v17, v15, vcc
	v_sub_u32_e32 v16, v15, v14
	v_lshrrev_b16_e32 v17, 15, v16
	v_add_u16_e32 v16, v16, v17
	v_ashrrev_i16_e32 v16, 1, v16
	v_add_u32_sdwa v16, v14, sext(v16) dst_sel:DWORD dst_unused:UNUSED_PAD src0_sel:DWORD src1_sel:WORD_0
	v_min_i32_e32 v16, 0x3ff, v16
	v_lshlrev_b32_e32 v17, 2, v16
	ds_read_b32 v17, v17 offset:2048
	v_add_u32_e32 v18, 1, v16
	s_waitcnt lgkmcnt(0)
	v_cmp_gt_u32_e32 vcc, v17, v13
	v_cndmask_b32_e32 v14, v18, v14, vcc
	v_cndmask_b32_e32 v15, v15, v16, vcc
	v_sub_u32_e32 v16, v15, v14
	v_lshrrev_b16_e32 v17, 15, v16
	v_add_u16_e32 v16, v16, v17
	v_ashrrev_i16_e32 v16, 1, v16
	v_add_u32_sdwa v16, v14, sext(v16) dst_sel:DWORD dst_unused:UNUSED_PAD src0_sel:DWORD src1_sel:WORD_0
	v_min_i32_e32 v16, 0x3ff, v16
	v_lshlrev_b32_e32 v17, 2, v16
	ds_read_b32 v17, v17 offset:2048
	v_add_u32_e32 v18, 1, v16
	;; [unrolled: 13-line block ×9, first 2 shown]
	s_waitcnt lgkmcnt(0)
	v_cmp_gt_u32_e32 vcc, v16, v13
	v_cndmask_b32_e32 v17, v15, v14, vcc
	v_add_u32_e32 v16, -1, v17
	v_cmp_ne_u32_e32 vcc, s4, v16
                                        ; implicit-def: $vgpr15
	s_and_saveexec_b64 s[0:1], vcc
	s_xor_b64 s[0:1], exec, s[0:1]
	s_cbranch_execz .LBB19_11
; %bb.10:                               ;   in Loop: Header=BB19_9 Depth=1
	v_lshlrev_b32_e32 v14, 2, v17
	ds_read_b32 v15, v14 offset:2048
.LBB19_11:                              ;   in Loop: Header=BB19_9 Depth=1
	s_andn2_saveexec_b64 s[0:1], s[0:1]
	s_cbranch_execz .LBB19_13
; %bb.12:                               ;   in Loop: Header=BB19_9 Depth=1
	s_waitcnt lgkmcnt(0)
	v_add_u32_e32 v15, 4, v13
.LBB19_13:                              ;   in Loop: Header=BB19_9 Depth=1
	s_or_b64 exec, exec, s[0:1]
	v_lshlrev_b32_e32 v14, 1, v16
	ds_read_u16 v14, v14
	s_waitcnt lgkmcnt(1)
	v_add_u32_e32 v18, -1, v15
	v_cmp_eq_u32_e32 vcc, v13, v18
	s_waitcnt lgkmcnt(0)
	v_mov_b32_e32 v15, v14
	s_and_saveexec_b64 s[0:1], vcc
	s_cbranch_execz .LBB19_19
; %bb.14:                               ;   in Loop: Header=BB19_9 Depth=1
	v_cmp_ne_u32_e32 vcc, s4, v17
                                        ; implicit-def: $vgpr16
	s_and_saveexec_b64 s[2:3], vcc
	s_xor_b64 s[2:3], exec, s[2:3]
	s_cbranch_execz .LBB19_16
; %bb.15:                               ;   in Loop: Header=BB19_9 Depth=1
	v_lshlrev_b32_e32 v15, 2, v17
	ds_read_b32 v16, v15 offset:2052
.LBB19_16:                              ;   in Loop: Header=BB19_9 Depth=1
	s_andn2_saveexec_b64 s[2:3], s[2:3]
	s_cbranch_execz .LBB19_18
; %bb.17:                               ;   in Loop: Header=BB19_9 Depth=1
	s_waitcnt lgkmcnt(0)
	v_add_u32_e32 v16, 4, v13
.LBB19_18:                              ;   in Loop: Header=BB19_9 Depth=1
	s_or_b64 exec, exec, s[2:3]
	v_lshlrev_b32_e32 v15, 1, v17
	ds_read_u16 v15, v15
	s_waitcnt lgkmcnt(1)
	v_add_u32_e32 v18, -1, v16
	v_mov_b32_e32 v16, v17
.LBB19_19:                              ;   in Loop: Header=BB19_9 Depth=1
	s_or_b64 exec, exec, s[0:1]
	v_add_u32_e32 v17, 1, v13
	v_cmp_eq_u32_e32 vcc, v17, v18
	s_waitcnt lgkmcnt(0)
	v_mov_b32_e32 v17, v15
	s_and_saveexec_b64 s[0:1], vcc
	s_cbranch_execz .LBB19_25
; %bb.20:                               ;   in Loop: Header=BB19_9 Depth=1
	v_add_u32_e32 v19, 1, v16
	v_cmp_ne_u32_e32 vcc, s4, v19
                                        ; implicit-def: $vgpr18
	s_and_saveexec_b64 s[2:3], vcc
	s_xor_b64 s[2:3], exec, s[2:3]
	s_cbranch_execz .LBB19_22
; %bb.21:                               ;   in Loop: Header=BB19_9 Depth=1
	v_lshlrev_b32_e32 v16, 2, v16
	ds_read_b32 v18, v16 offset:2056
.LBB19_22:                              ;   in Loop: Header=BB19_9 Depth=1
	s_andn2_saveexec_b64 s[2:3], s[2:3]
	s_cbranch_execz .LBB19_24
; %bb.23:                               ;   in Loop: Header=BB19_9 Depth=1
	s_waitcnt lgkmcnt(0)
	v_add_u32_e32 v18, 5, v13
.LBB19_24:                              ;   in Loop: Header=BB19_9 Depth=1
	s_or_b64 exec, exec, s[2:3]
	v_lshlrev_b32_e32 v16, 1, v19
	ds_read_u16 v17, v16
	s_waitcnt lgkmcnt(1)
	v_add_u32_e32 v18, -1, v18
	v_mov_b32_e32 v16, v19
.LBB19_25:                              ;   in Loop: Header=BB19_9 Depth=1
	s_or_b64 exec, exec, s[0:1]
	v_add_u32_e32 v13, 2, v13
	v_cmp_eq_u32_e32 vcc, v13, v18
	s_waitcnt lgkmcnt(0)
	v_mov_b32_e32 v13, v17
	s_and_saveexec_b64 s[0:1], vcc
	s_cbranch_execz .LBB19_27
; %bb.26:                               ;   in Loop: Header=BB19_9 Depth=1
	v_lshlrev_b32_e32 v13, 1, v16
	ds_read_u16 v13, v13 offset:2
.LBB19_27:                              ;   in Loop: Header=BB19_9 Depth=1
	s_or_b64 exec, exec, s[0:1]
	s_min_u32 s2, s5, 0x400
	v_cmp_gt_u32_e32 vcc, s2, v6
	s_and_saveexec_b64 s[0:1], vcc
	s_cbranch_execnz .LBB19_31
; %bb.28:                               ;   in Loop: Header=BB19_9 Depth=1
	s_or_b64 exec, exec, s[0:1]
	v_cmp_gt_u32_e32 vcc, s2, v3
	s_and_saveexec_b64 s[0:1], vcc
	s_cbranch_execnz .LBB19_32
.LBB19_29:                              ;   in Loop: Header=BB19_9 Depth=1
	s_or_b64 exec, exec, s[0:1]
	v_cmp_gt_u32_e32 vcc, s2, v4
	s_and_saveexec_b64 s[0:1], vcc
	s_cbranch_execnz .LBB19_33
.LBB19_30:                              ;   in Loop: Header=BB19_9 Depth=1
	s_or_b64 exec, exec, s[0:1]
	v_cmp_gt_u32_e32 vcc, s2, v5
	s_and_saveexec_b64 s[0:1], vcc
	s_cbranch_execz .LBB19_8
	s_branch .LBB19_34
.LBB19_31:                              ;   in Loop: Header=BB19_9 Depth=1
	global_store_short v[0:1], v14, off offset:-4
	s_or_b64 exec, exec, s[0:1]
	v_cmp_gt_u32_e32 vcc, s2, v3
	s_and_saveexec_b64 s[0:1], vcc
	s_cbranch_execz .LBB19_29
.LBB19_32:                              ;   in Loop: Header=BB19_9 Depth=1
	global_store_short v[0:1], v15, off offset:-2
	s_or_b64 exec, exec, s[0:1]
	v_cmp_gt_u32_e32 vcc, s2, v4
	s_and_saveexec_b64 s[0:1], vcc
	s_cbranch_execz .LBB19_30
.LBB19_33:                              ;   in Loop: Header=BB19_9 Depth=1
	global_store_short v[0:1], v17, off
	s_or_b64 exec, exec, s[0:1]
	v_cmp_gt_u32_e32 vcc, s2, v5
	s_and_saveexec_b64 s[0:1], vcc
	s_cbranch_execz .LBB19_8
.LBB19_34:                              ;   in Loop: Header=BB19_9 Depth=1
	s_waitcnt lgkmcnt(0)
	global_store_short v[0:1], v13, off offset:2
	s_branch .LBB19_8
.LBB19_35:
	s_endpgm
	.section	.rodata,"a",@progbits
	.p2align	6, 0x0
	.amdhsa_kernel _Z30block_run_length_decode_kernelI6__halfiLj256ELj4ELj4EEvPKT_PKT0_PS1_
		.amdhsa_group_segment_fixed_size 6144
		.amdhsa_private_segment_fixed_size 0
		.amdhsa_kernarg_size 24
		.amdhsa_user_sgpr_count 6
		.amdhsa_user_sgpr_private_segment_buffer 1
		.amdhsa_user_sgpr_dispatch_ptr 0
		.amdhsa_user_sgpr_queue_ptr 0
		.amdhsa_user_sgpr_kernarg_segment_ptr 1
		.amdhsa_user_sgpr_dispatch_id 0
		.amdhsa_user_sgpr_flat_scratch_init 0
		.amdhsa_user_sgpr_kernarg_preload_length 0
		.amdhsa_user_sgpr_kernarg_preload_offset 0
		.amdhsa_user_sgpr_private_segment_size 0
		.amdhsa_uses_dynamic_stack 0
		.amdhsa_system_sgpr_private_segment_wavefront_offset 0
		.amdhsa_system_sgpr_workgroup_id_x 1
		.amdhsa_system_sgpr_workgroup_id_y 0
		.amdhsa_system_sgpr_workgroup_id_z 0
		.amdhsa_system_sgpr_workgroup_info 0
		.amdhsa_system_vgpr_workitem_id 0
		.amdhsa_next_free_vgpr 20
		.amdhsa_next_free_sgpr 8
		.amdhsa_accum_offset 20
		.amdhsa_reserve_vcc 1
		.amdhsa_reserve_flat_scratch 0
		.amdhsa_float_round_mode_32 0
		.amdhsa_float_round_mode_16_64 0
		.amdhsa_float_denorm_mode_32 3
		.amdhsa_float_denorm_mode_16_64 3
		.amdhsa_dx10_clamp 1
		.amdhsa_ieee_mode 1
		.amdhsa_fp16_overflow 0
		.amdhsa_tg_split 0
		.amdhsa_exception_fp_ieee_invalid_op 0
		.amdhsa_exception_fp_denorm_src 0
		.amdhsa_exception_fp_ieee_div_zero 0
		.amdhsa_exception_fp_ieee_overflow 0
		.amdhsa_exception_fp_ieee_underflow 0
		.amdhsa_exception_fp_ieee_inexact 0
		.amdhsa_exception_int_div_zero 0
	.end_amdhsa_kernel
	.section	.text._Z30block_run_length_decode_kernelI6__halfiLj256ELj4ELj4EEvPKT_PKT0_PS1_,"axG",@progbits,_Z30block_run_length_decode_kernelI6__halfiLj256ELj4ELj4EEvPKT_PKT0_PS1_,comdat
.Lfunc_end19:
	.size	_Z30block_run_length_decode_kernelI6__halfiLj256ELj4ELj4EEvPKT_PKT0_PS1_, .Lfunc_end19-_Z30block_run_length_decode_kernelI6__halfiLj256ELj4ELj4EEvPKT_PKT0_PS1_
                                        ; -- End function
	.section	.AMDGPU.csdata,"",@progbits
; Kernel info:
; codeLenInByte = 1856
; NumSgprs: 12
; NumVgprs: 20
; NumAgprs: 0
; TotalNumVgprs: 20
; ScratchSize: 0
; MemoryBound: 0
; FloatMode: 240
; IeeeMode: 1
; LDSByteSize: 6144 bytes/workgroup (compile time only)
; SGPRBlocks: 1
; VGPRBlocks: 2
; NumSGPRsForWavesPerEU: 12
; NumVGPRsForWavesPerEU: 20
; AccumOffset: 20
; Occupancy: 8
; WaveLimiterHint : 0
; COMPUTE_PGM_RSRC2:SCRATCH_EN: 0
; COMPUTE_PGM_RSRC2:USER_SGPR: 6
; COMPUTE_PGM_RSRC2:TRAP_HANDLER: 0
; COMPUTE_PGM_RSRC2:TGID_X_EN: 1
; COMPUTE_PGM_RSRC2:TGID_Y_EN: 0
; COMPUTE_PGM_RSRC2:TGID_Z_EN: 0
; COMPUTE_PGM_RSRC2:TIDIG_COMP_CNT: 0
; COMPUTE_PGM_RSRC3_GFX90A:ACCUM_OFFSET: 4
; COMPUTE_PGM_RSRC3_GFX90A:TG_SPLIT: 0
	.section	.text._Z30block_run_length_decode_kernelIfiLj256ELj4ELj4EEvPKT_PKT0_PS0_,"axG",@progbits,_Z30block_run_length_decode_kernelIfiLj256ELj4ELj4EEvPKT_PKT0_PS0_,comdat
	.protected	_Z30block_run_length_decode_kernelIfiLj256ELj4ELj4EEvPKT_PKT0_PS0_ ; -- Begin function _Z30block_run_length_decode_kernelIfiLj256ELj4ELj4EEvPKT_PKT0_PS0_
	.globl	_Z30block_run_length_decode_kernelIfiLj256ELj4ELj4EEvPKT_PKT0_PS0_
	.p2align	8
	.type	_Z30block_run_length_decode_kernelIfiLj256ELj4ELj4EEvPKT_PKT0_PS0_,@function
_Z30block_run_length_decode_kernelIfiLj256ELj4ELj4EEvPKT_PKT0_PS0_: ; @_Z30block_run_length_decode_kernelIfiLj256ELj4ELj4EEvPKT_PKT0_PS0_
; %bb.0:
	s_load_dwordx4 s[0:3], s[4:5], 0x0
	v_lshlrev_b32_e32 v14, 2, v0
	v_lshl_or_b32 v10, s6, 10, v14
	v_mov_b32_e32 v11, 0
	v_lshlrev_b64 v[12:13], 2, v[10:11]
	s_waitcnt lgkmcnt(0)
	v_mov_b32_e32 v1, s3
	v_add_co_u32_e32 v2, vcc, s2, v12
	v_addc_co_u32_e32 v3, vcc, v1, v13, vcc
	global_load_dwordx4 v[6:9], v[2:3], off
	v_mov_b32_e32 v1, s1
	v_add_co_u32_e32 v2, vcc, s0, v12
	v_addc_co_u32_e32 v3, vcc, v1, v13, vcc
	global_load_dwordx4 v[2:5], v[2:3], off
	v_mbcnt_lo_u32_b32 v1, -1, 0
	v_mbcnt_hi_u32_b32 v1, -1, v1
	v_and_b32_e32 v16, 15, v1
	v_cmp_ne_u32_e32 vcc, 0, v16
	v_bfe_i32 v17, v1, 4, 1
	v_or_b32_e32 v15, 63, v0
	v_lshrrev_b32_e32 v11, 6, v0
	s_waitcnt vmcnt(1)
	v_add_u32_e32 v18, v7, v6
	v_add3_u32 v9, v18, v8, v9
	s_nop 1
	v_mov_b32_dpp v18, v9 row_shr:1 row_mask:0xf bank_mask:0xf
	v_cndmask_b32_e32 v18, 0, v18, vcc
	v_add_u32_e32 v9, v18, v9
	v_cmp_lt_u32_e32 vcc, 1, v16
	s_nop 0
	v_mov_b32_dpp v18, v9 row_shr:2 row_mask:0xf bank_mask:0xf
	v_cndmask_b32_e32 v18, 0, v18, vcc
	v_add_u32_e32 v9, v9, v18
	v_cmp_lt_u32_e32 vcc, 3, v16
	;; [unrolled: 5-line block ×4, first 2 shown]
	s_nop 0
	v_mov_b32_dpp v16, v9 row_bcast:15 row_mask:0xf bank_mask:0xf
	v_and_b32_e32 v16, v17, v16
	v_add_u32_e32 v9, v9, v16
	s_nop 1
	v_mov_b32_dpp v16, v9 row_bcast:31 row_mask:0xf bank_mask:0xf
	v_cndmask_b32_e32 v16, 0, v16, vcc
	v_add_u32_e32 v9, v9, v16
	v_cmp_eq_u32_e32 vcc, v15, v0
	s_and_saveexec_b64 s[0:1], vcc
	s_cbranch_execz .LBB20_2
; %bb.1:
	v_lshlrev_b32_e32 v15, 2, v11
	ds_write_b32 v15, v9
.LBB20_2:
	s_or_b64 exec, exec, s[0:1]
	v_cmp_gt_u32_e32 vcc, 4, v0
	s_waitcnt lgkmcnt(0)
	s_barrier
	s_and_saveexec_b64 s[0:1], vcc
	s_cbranch_execz .LBB20_4
; %bb.3:
	ds_read_b32 v15, v14
	v_and_b32_e32 v16, 3, v1
	v_cmp_ne_u32_e32 vcc, 0, v16
	s_waitcnt lgkmcnt(0)
	v_mov_b32_dpp v17, v15 row_shr:1 row_mask:0xf bank_mask:0xf
	v_cndmask_b32_e32 v17, 0, v17, vcc
	v_add_u32_e32 v15, v17, v15
	v_cmp_lt_u32_e32 vcc, 1, v16
	s_nop 0
	v_mov_b32_dpp v17, v15 row_shr:2 row_mask:0xf bank_mask:0xf
	v_cndmask_b32_e32 v16, 0, v17, vcc
	v_add_u32_e32 v15, v15, v16
	ds_write_b32 v14, v15
.LBB20_4:
	s_or_b64 exec, exec, s[0:1]
	v_cmp_lt_u32_e32 vcc, 63, v0
	v_mov_b32_e32 v15, 0
	v_mov_b32_e32 v16, 0
	s_waitcnt lgkmcnt(0)
	s_barrier
	s_and_saveexec_b64 s[0:1], vcc
	s_cbranch_execz .LBB20_6
; %bb.5:
	v_lshl_add_u32 v11, v11, 2, -4
	ds_read_b32 v16, v11
.LBB20_6:
	s_or_b64 exec, exec, s[0:1]
	v_add_u32_e32 v11, -1, v1
	v_and_b32_e32 v17, 64, v1
	v_cmp_lt_i32_e32 vcc, v11, v17
	v_cndmask_b32_e32 v11, v11, v1, vcc
	s_waitcnt lgkmcnt(0)
	v_add_u32_e32 v9, v16, v9
	v_lshlrev_b32_e32 v11, 2, v11
	ds_bpermute_b32 v9, v11, v9
	v_cmp_eq_u32_e32 vcc, 0, v1
	s_mov_b32 s6, 0
	s_waitcnt lgkmcnt(0)
	v_cndmask_b32_e32 v1, v9, v16, vcc
	ds_read_b32 v9, v15 offset:12
	v_cmp_ne_u32_e32 vcc, 0, v0
	v_cndmask_b32_e32 v0, 0, v1, vcc
	v_add_u32_e32 v1, v0, v6
	v_add_u32_e32 v6, v1, v7
	s_waitcnt lgkmcnt(0)
	v_cmp_eq_u32_e32 vcc, 0, v9
	v_add_u32_e32 v7, v6, v8
	v_readfirstlane_b32 s7, v9
	v_lshlrev_b32_e32 v8, 2, v14
	s_and_b64 vcc, exec, vcc
	s_barrier
	v_or_b32_e32 v11, 0x1000, v8
	s_waitcnt vmcnt(0)
	ds_write2_b32 v8, v2, v3 offset1:1
	ds_write2_b32 v11, v0, v1 offset1:1
	v_add_u32_e32 v0, 0x1008, v8
	ds_write2_b32 v8, v4, v5 offset0:2 offset1:3
	ds_write2_b32 v0, v6, v7 offset1:1
	s_waitcnt lgkmcnt(0)
	s_barrier
	s_cbranch_vccnz .LBB20_35
; %bb.7:
	s_load_dwordx2 s[0:1], s[4:5], 0x10
	v_mov_b32_e32 v0, 0
	ds_read_b32 v2, v0 offset:6144
	v_or_b32_e32 v3, 1, v10
	v_or_b32_e32 v4, 2, v10
	s_waitcnt lgkmcnt(0)
	v_mov_b32_e32 v0, s1
	v_add_co_u32_e32 v1, vcc, s0, v12
	v_addc_co_u32_e32 v6, vcc, v13, v0, vcc
	v_add_co_u32_e32 v0, vcc, 8, v1
	v_or_b32_e32 v5, 3, v10
	v_addc_co_u32_e32 v1, vcc, 0, v6, vcc
	v_mov_b32_e32 v6, 0x201
	v_mov_b32_e32 v7, 0x400
	;; [unrolled: 1-line block ×5, first 2 shown]
	s_movk_i32 s4, 0x3ff
	s_mov_b32 s5, s7
	s_branch .LBB20_9
.LBB20_8:                               ;   in Loop: Header=BB20_9 Depth=1
	s_or_b64 exec, exec, s[0:1]
	s_addk_i32 s6, 0x400
	s_addk_i32 s5, 0xfc00
	v_add_co_u32_e32 v0, vcc, 0x1000, v0
	s_cmp_lt_u32 s6, s7
	v_addc_co_u32_e32 v1, vcc, 0, v1, vcc
	s_cbranch_scc0 .LBB20_35
.LBB20_9:                               ; =>This Inner Loop Header: Depth=1
	s_waitcnt lgkmcnt(0)
	v_add_u32_e32 v12, s6, v14
	v_cmp_gt_u32_e32 vcc, v2, v12
	v_cndmask_b32_e32 v15, v9, v11, vcc
	v_lshlrev_b32_e32 v16, 2, v15
	ds_read_b32 v16, v16 offset:4096
	v_cndmask_b32_e64 v13, v6, 0, vcc
	v_cndmask_b32_e32 v17, v7, v8, vcc
	v_or_b32_e32 v18, 1, v15
	s_waitcnt lgkmcnt(0)
	v_cmp_gt_u32_e32 vcc, v16, v12
	v_cndmask_b32_e32 v13, v18, v13, vcc
	v_cndmask_b32_e32 v15, v17, v15, vcc
	v_sub_u32_e32 v16, v15, v13
	v_lshrrev_b16_e32 v17, 15, v16
	v_add_u16_e32 v16, v16, v17
	v_ashrrev_i16_e32 v16, 1, v16
	v_add_u32_sdwa v16, v13, sext(v16) dst_sel:DWORD dst_unused:UNUSED_PAD src0_sel:DWORD src1_sel:WORD_0
	v_min_i32_e32 v16, 0x3ff, v16
	v_lshlrev_b32_e32 v17, 2, v16
	ds_read_b32 v17, v17 offset:4096
	v_add_u32_e32 v18, 1, v16
	s_waitcnt lgkmcnt(0)
	v_cmp_gt_u32_e32 vcc, v17, v12
	v_cndmask_b32_e32 v13, v18, v13, vcc
	v_cndmask_b32_e32 v15, v15, v16, vcc
	v_sub_u32_e32 v16, v15, v13
	v_lshrrev_b16_e32 v17, 15, v16
	v_add_u16_e32 v16, v16, v17
	v_ashrrev_i16_e32 v16, 1, v16
	v_add_u32_sdwa v16, v13, sext(v16) dst_sel:DWORD dst_unused:UNUSED_PAD src0_sel:DWORD src1_sel:WORD_0
	v_min_i32_e32 v16, 0x3ff, v16
	v_lshlrev_b32_e32 v17, 2, v16
	ds_read_b32 v17, v17 offset:4096
	v_add_u32_e32 v18, 1, v16
	;; [unrolled: 13-line block ×9, first 2 shown]
	s_waitcnt lgkmcnt(0)
	v_cmp_gt_u32_e32 vcc, v16, v12
	v_cndmask_b32_e32 v17, v15, v13, vcc
	v_add_u32_e32 v16, -1, v17
	v_cmp_ne_u32_e32 vcc, s4, v16
                                        ; implicit-def: $vgpr15
	s_and_saveexec_b64 s[0:1], vcc
	s_xor_b64 s[0:1], exec, s[0:1]
	s_cbranch_execz .LBB20_11
; %bb.10:                               ;   in Loop: Header=BB20_9 Depth=1
	v_lshlrev_b32_e32 v13, 2, v17
	ds_read_b32 v15, v13 offset:4096
.LBB20_11:                              ;   in Loop: Header=BB20_9 Depth=1
	s_andn2_saveexec_b64 s[0:1], s[0:1]
	s_cbranch_execz .LBB20_13
; %bb.12:                               ;   in Loop: Header=BB20_9 Depth=1
	s_waitcnt lgkmcnt(0)
	v_add_u32_e32 v15, 4, v12
.LBB20_13:                              ;   in Loop: Header=BB20_9 Depth=1
	s_or_b64 exec, exec, s[0:1]
	v_lshlrev_b32_e32 v13, 2, v16
	ds_read_b32 v13, v13
	s_waitcnt lgkmcnt(1)
	v_add_u32_e32 v18, -1, v15
	v_cmp_eq_u32_e32 vcc, v12, v18
	s_waitcnt lgkmcnt(0)
	v_mov_b32_e32 v15, v13
	s_and_saveexec_b64 s[0:1], vcc
	s_cbranch_execz .LBB20_19
; %bb.14:                               ;   in Loop: Header=BB20_9 Depth=1
	v_cmp_ne_u32_e32 vcc, s4, v17
	v_lshlrev_b32_e32 v15, 2, v17
                                        ; implicit-def: $vgpr16
	s_and_saveexec_b64 s[2:3], vcc
	s_xor_b64 s[2:3], exec, s[2:3]
	s_cbranch_execz .LBB20_16
; %bb.15:                               ;   in Loop: Header=BB20_9 Depth=1
	ds_read_b32 v16, v15 offset:4100
.LBB20_16:                              ;   in Loop: Header=BB20_9 Depth=1
	s_andn2_saveexec_b64 s[2:3], s[2:3]
	s_cbranch_execz .LBB20_18
; %bb.17:                               ;   in Loop: Header=BB20_9 Depth=1
	s_waitcnt lgkmcnt(0)
	v_add_u32_e32 v16, 4, v12
.LBB20_18:                              ;   in Loop: Header=BB20_9 Depth=1
	s_or_b64 exec, exec, s[2:3]
	ds_read_b32 v15, v15
	s_waitcnt lgkmcnt(1)
	v_add_u32_e32 v18, -1, v16
	v_mov_b32_e32 v16, v17
.LBB20_19:                              ;   in Loop: Header=BB20_9 Depth=1
	s_or_b64 exec, exec, s[0:1]
	v_add_u32_e32 v17, 1, v12
	v_cmp_eq_u32_e32 vcc, v17, v18
	s_waitcnt lgkmcnt(0)
	v_mov_b32_e32 v17, v15
	s_and_saveexec_b64 s[0:1], vcc
	s_cbranch_execz .LBB20_25
; %bb.20:                               ;   in Loop: Header=BB20_9 Depth=1
	v_add_u32_e32 v19, 1, v16
	v_cmp_ne_u32_e32 vcc, s4, v19
                                        ; implicit-def: $vgpr18
	s_and_saveexec_b64 s[2:3], vcc
	s_xor_b64 s[2:3], exec, s[2:3]
	s_cbranch_execz .LBB20_22
; %bb.21:                               ;   in Loop: Header=BB20_9 Depth=1
	v_lshlrev_b32_e32 v16, 2, v16
	ds_read_b32 v18, v16 offset:4104
.LBB20_22:                              ;   in Loop: Header=BB20_9 Depth=1
	s_andn2_saveexec_b64 s[2:3], s[2:3]
	s_cbranch_execz .LBB20_24
; %bb.23:                               ;   in Loop: Header=BB20_9 Depth=1
	s_waitcnt lgkmcnt(0)
	v_add_u32_e32 v18, 5, v12
.LBB20_24:                              ;   in Loop: Header=BB20_9 Depth=1
	s_or_b64 exec, exec, s[2:3]
	v_lshlrev_b32_e32 v16, 2, v19
	ds_read_b32 v17, v16
	s_waitcnt lgkmcnt(1)
	v_add_u32_e32 v18, -1, v18
	v_mov_b32_e32 v16, v19
.LBB20_25:                              ;   in Loop: Header=BB20_9 Depth=1
	s_or_b64 exec, exec, s[0:1]
	v_add_u32_e32 v12, 2, v12
	v_cmp_eq_u32_e32 vcc, v12, v18
	s_waitcnt lgkmcnt(0)
	v_mov_b32_e32 v12, v17
	s_and_saveexec_b64 s[0:1], vcc
	s_cbranch_execz .LBB20_27
; %bb.26:                               ;   in Loop: Header=BB20_9 Depth=1
	v_lshlrev_b32_e32 v12, 2, v16
	ds_read_b32 v12, v12 offset:4
.LBB20_27:                              ;   in Loop: Header=BB20_9 Depth=1
	s_or_b64 exec, exec, s[0:1]
	s_min_u32 s2, s5, 0x400
	v_cmp_gt_u32_e32 vcc, s2, v10
	s_and_saveexec_b64 s[0:1], vcc
	s_cbranch_execnz .LBB20_31
; %bb.28:                               ;   in Loop: Header=BB20_9 Depth=1
	s_or_b64 exec, exec, s[0:1]
	v_cmp_gt_u32_e32 vcc, s2, v3
	s_and_saveexec_b64 s[0:1], vcc
	s_cbranch_execnz .LBB20_32
.LBB20_29:                              ;   in Loop: Header=BB20_9 Depth=1
	s_or_b64 exec, exec, s[0:1]
	v_cmp_gt_u32_e32 vcc, s2, v4
	s_and_saveexec_b64 s[0:1], vcc
	s_cbranch_execnz .LBB20_33
.LBB20_30:                              ;   in Loop: Header=BB20_9 Depth=1
	s_or_b64 exec, exec, s[0:1]
	v_cmp_gt_u32_e32 vcc, s2, v5
	s_and_saveexec_b64 s[0:1], vcc
	s_cbranch_execz .LBB20_8
	s_branch .LBB20_34
.LBB20_31:                              ;   in Loop: Header=BB20_9 Depth=1
	global_store_dword v[0:1], v13, off offset:-8
	s_or_b64 exec, exec, s[0:1]
	v_cmp_gt_u32_e32 vcc, s2, v3
	s_and_saveexec_b64 s[0:1], vcc
	s_cbranch_execz .LBB20_29
.LBB20_32:                              ;   in Loop: Header=BB20_9 Depth=1
	global_store_dword v[0:1], v15, off offset:-4
	s_or_b64 exec, exec, s[0:1]
	v_cmp_gt_u32_e32 vcc, s2, v4
	s_and_saveexec_b64 s[0:1], vcc
	s_cbranch_execz .LBB20_30
.LBB20_33:                              ;   in Loop: Header=BB20_9 Depth=1
	global_store_dword v[0:1], v17, off
	s_or_b64 exec, exec, s[0:1]
	v_cmp_gt_u32_e32 vcc, s2, v5
	s_and_saveexec_b64 s[0:1], vcc
	s_cbranch_execz .LBB20_8
.LBB20_34:                              ;   in Loop: Header=BB20_9 Depth=1
	s_waitcnt lgkmcnt(0)
	global_store_dword v[0:1], v12, off offset:4
	s_branch .LBB20_8
.LBB20_35:
	s_endpgm
	.section	.rodata,"a",@progbits
	.p2align	6, 0x0
	.amdhsa_kernel _Z30block_run_length_decode_kernelIfiLj256ELj4ELj4EEvPKT_PKT0_PS0_
		.amdhsa_group_segment_fixed_size 8192
		.amdhsa_private_segment_fixed_size 0
		.amdhsa_kernarg_size 24
		.amdhsa_user_sgpr_count 6
		.amdhsa_user_sgpr_private_segment_buffer 1
		.amdhsa_user_sgpr_dispatch_ptr 0
		.amdhsa_user_sgpr_queue_ptr 0
		.amdhsa_user_sgpr_kernarg_segment_ptr 1
		.amdhsa_user_sgpr_dispatch_id 0
		.amdhsa_user_sgpr_flat_scratch_init 0
		.amdhsa_user_sgpr_kernarg_preload_length 0
		.amdhsa_user_sgpr_kernarg_preload_offset 0
		.amdhsa_user_sgpr_private_segment_size 0
		.amdhsa_uses_dynamic_stack 0
		.amdhsa_system_sgpr_private_segment_wavefront_offset 0
		.amdhsa_system_sgpr_workgroup_id_x 1
		.amdhsa_system_sgpr_workgroup_id_y 0
		.amdhsa_system_sgpr_workgroup_id_z 0
		.amdhsa_system_sgpr_workgroup_info 0
		.amdhsa_system_vgpr_workitem_id 0
		.amdhsa_next_free_vgpr 20
		.amdhsa_next_free_sgpr 8
		.amdhsa_accum_offset 20
		.amdhsa_reserve_vcc 1
		.amdhsa_reserve_flat_scratch 0
		.amdhsa_float_round_mode_32 0
		.amdhsa_float_round_mode_16_64 0
		.amdhsa_float_denorm_mode_32 3
		.amdhsa_float_denorm_mode_16_64 3
		.amdhsa_dx10_clamp 1
		.amdhsa_ieee_mode 1
		.amdhsa_fp16_overflow 0
		.amdhsa_tg_split 0
		.amdhsa_exception_fp_ieee_invalid_op 0
		.amdhsa_exception_fp_denorm_src 0
		.amdhsa_exception_fp_ieee_div_zero 0
		.amdhsa_exception_fp_ieee_overflow 0
		.amdhsa_exception_fp_ieee_underflow 0
		.amdhsa_exception_fp_ieee_inexact 0
		.amdhsa_exception_int_div_zero 0
	.end_amdhsa_kernel
	.section	.text._Z30block_run_length_decode_kernelIfiLj256ELj4ELj4EEvPKT_PKT0_PS0_,"axG",@progbits,_Z30block_run_length_decode_kernelIfiLj256ELj4ELj4EEvPKT_PKT0_PS0_,comdat
.Lfunc_end20:
	.size	_Z30block_run_length_decode_kernelIfiLj256ELj4ELj4EEvPKT_PKT0_PS0_, .Lfunc_end20-_Z30block_run_length_decode_kernelIfiLj256ELj4ELj4EEvPKT_PKT0_PS0_
                                        ; -- End function
	.section	.AMDGPU.csdata,"",@progbits
; Kernel info:
; codeLenInByte = 1848
; NumSgprs: 12
; NumVgprs: 20
; NumAgprs: 0
; TotalNumVgprs: 20
; ScratchSize: 0
; MemoryBound: 0
; FloatMode: 240
; IeeeMode: 1
; LDSByteSize: 8192 bytes/workgroup (compile time only)
; SGPRBlocks: 1
; VGPRBlocks: 2
; NumSGPRsForWavesPerEU: 12
; NumVGPRsForWavesPerEU: 20
; AccumOffset: 20
; Occupancy: 8
; WaveLimiterHint : 0
; COMPUTE_PGM_RSRC2:SCRATCH_EN: 0
; COMPUTE_PGM_RSRC2:USER_SGPR: 6
; COMPUTE_PGM_RSRC2:TRAP_HANDLER: 0
; COMPUTE_PGM_RSRC2:TGID_X_EN: 1
; COMPUTE_PGM_RSRC2:TGID_Y_EN: 0
; COMPUTE_PGM_RSRC2:TGID_Z_EN: 0
; COMPUTE_PGM_RSRC2:TIDIG_COMP_CNT: 0
; COMPUTE_PGM_RSRC3_GFX90A:ACCUM_OFFSET: 4
; COMPUTE_PGM_RSRC3_GFX90A:TG_SPLIT: 0
	.section	.text._Z30block_run_length_decode_kernelIcxLj256ELj4ELj4EEvPKT_PKT0_PS0_,"axG",@progbits,_Z30block_run_length_decode_kernelIcxLj256ELj4ELj4EEvPKT_PKT0_PS0_,comdat
	.protected	_Z30block_run_length_decode_kernelIcxLj256ELj4ELj4EEvPKT_PKT0_PS0_ ; -- Begin function _Z30block_run_length_decode_kernelIcxLj256ELj4ELj4EEvPKT_PKT0_PS0_
	.globl	_Z30block_run_length_decode_kernelIcxLj256ELj4ELj4EEvPKT_PKT0_PS0_
	.p2align	8
	.type	_Z30block_run_length_decode_kernelIcxLj256ELj4ELj4EEvPKT_PKT0_PS0_,@function
_Z30block_run_length_decode_kernelIcxLj256ELj4ELj4EEvPKT_PKT0_PS0_: ; @_Z30block_run_length_decode_kernelIcxLj256ELj4ELj4EEvPKT_PKT0_PS0_
; %bb.0:
	s_load_dwordx4 s[0:3], s[4:5], 0x0
	v_lshlrev_b32_e32 v10, 2, v0
	v_lshl_or_b32 v12, s6, 10, v10
	v_mov_b32_e32 v13, 0
	v_lshlrev_b64 v[2:3], 3, v[12:13]
	s_waitcnt lgkmcnt(0)
	v_mov_b32_e32 v1, s3
	v_add_co_u32_e32 v14, vcc, s2, v2
	v_addc_co_u32_e32 v15, vcc, v1, v3, vcc
	global_load_dwordx4 v[6:9], v[14:15], off
	global_load_dwordx4 v[2:5], v[14:15], off offset:16
	global_load_dword v1, v12, s[0:1]
	s_waitcnt vmcnt(1)
	v_mbcnt_lo_u32_b32 v3, -1, 0
	v_mbcnt_hi_u32_b32 v3, -1, v3
	v_and_b32_e32 v9, 15, v3
	v_cmp_ne_u32_e32 vcc, 0, v9
	v_bfe_i32 v11, v3, 4, 1
	v_or_b32_e32 v7, 63, v0
	v_lshrrev_b32_e32 v5, 6, v0
	v_add_u32_e32 v13, v8, v6
	v_add3_u32 v4, v13, v2, v4
	s_nop 1
	v_mov_b32_dpp v13, v4 row_shr:1 row_mask:0xf bank_mask:0xf
	v_cndmask_b32_e32 v13, 0, v13, vcc
	v_add_u32_e32 v4, v13, v4
	v_cmp_lt_u32_e32 vcc, 1, v9
	s_nop 0
	v_mov_b32_dpp v13, v4 row_shr:2 row_mask:0xf bank_mask:0xf
	v_cndmask_b32_e32 v13, 0, v13, vcc
	v_add_u32_e32 v4, v4, v13
	v_cmp_lt_u32_e32 vcc, 3, v9
	;; [unrolled: 5-line block ×4, first 2 shown]
	s_nop 0
	v_mov_b32_dpp v9, v4 row_bcast:15 row_mask:0xf bank_mask:0xf
	v_and_b32_e32 v9, v11, v9
	v_add_u32_e32 v4, v4, v9
	s_nop 1
	v_mov_b32_dpp v9, v4 row_bcast:31 row_mask:0xf bank_mask:0xf
	v_cndmask_b32_e32 v9, 0, v9, vcc
	v_add_u32_e32 v4, v4, v9
	v_cmp_eq_u32_e32 vcc, v7, v0
	s_and_saveexec_b64 s[0:1], vcc
	s_cbranch_execz .LBB21_2
; %bb.1:
	v_lshlrev_b32_e32 v7, 2, v5
	ds_write_b32 v7, v4
.LBB21_2:
	s_or_b64 exec, exec, s[0:1]
	v_cmp_gt_u32_e32 vcc, 4, v0
	s_waitcnt lgkmcnt(0)
	s_barrier
	s_and_saveexec_b64 s[0:1], vcc
	s_cbranch_execz .LBB21_4
; %bb.3:
	ds_read_b32 v7, v10
	v_and_b32_e32 v9, 3, v3
	v_cmp_ne_u32_e32 vcc, 0, v9
	s_waitcnt lgkmcnt(0)
	v_mov_b32_dpp v11, v7 row_shr:1 row_mask:0xf bank_mask:0xf
	v_cndmask_b32_e32 v11, 0, v11, vcc
	v_add_u32_e32 v7, v11, v7
	v_cmp_lt_u32_e32 vcc, 1, v9
	s_nop 0
	v_mov_b32_dpp v11, v7 row_shr:2 row_mask:0xf bank_mask:0xf
	v_cndmask_b32_e32 v9, 0, v11, vcc
	v_add_u32_e32 v7, v7, v9
	ds_write_b32 v10, v7
.LBB21_4:
	s_or_b64 exec, exec, s[0:1]
	v_cmp_lt_u32_e32 vcc, 63, v0
	v_mov_b32_e32 v7, 0
	v_mov_b32_e32 v9, 0
	s_waitcnt lgkmcnt(0)
	s_barrier
	s_and_saveexec_b64 s[0:1], vcc
	s_cbranch_execz .LBB21_6
; %bb.5:
	v_lshl_add_u32 v5, v5, 2, -4
	ds_read_b32 v9, v5
.LBB21_6:
	s_or_b64 exec, exec, s[0:1]
	v_add_u32_e32 v5, -1, v3
	v_and_b32_e32 v11, 64, v3
	v_cmp_lt_i32_e32 vcc, v5, v11
	v_cndmask_b32_e32 v5, v5, v3, vcc
	s_waitcnt lgkmcnt(0)
	v_add_u32_e32 v4, v9, v4
	v_lshlrev_b32_e32 v5, 2, v5
	ds_bpermute_b32 v4, v5, v4
	v_cmp_eq_u32_e32 vcc, 0, v3
	s_waitcnt lgkmcnt(0)
	v_cndmask_b32_e32 v3, v4, v9, vcc
	ds_read_b32 v4, v7 offset:12
	v_cmp_ne_u32_e32 vcc, 0, v0
	v_cndmask_b32_e32 v0, 0, v3, vcc
	v_add_u32_e32 v3, v0, v6
	v_lshlrev_b32_e32 v6, 2, v10
	s_waitcnt lgkmcnt(0)
	v_cmp_eq_u32_e32 vcc, 0, v4
	v_add_u32_e32 v5, v3, v8
	v_readfirstlane_b32 s6, v4
	v_add_u32_e32 v7, 0x400, v6
	s_and_b64 vcc, exec, vcc
	v_add_u32_e32 v2, v5, v2
	s_barrier
	ds_write2_b32 v7, v0, v3 offset1:1
	v_add_u32_e32 v0, 0x408, v6
	s_waitcnt vmcnt(0)
	ds_write_b32 v10, v1
	ds_write2_b32 v0, v5, v2 offset1:1
	s_waitcnt lgkmcnt(0)
	s_barrier
	s_cbranch_vccnz .LBB21_35
; %bb.7:
	s_load_dwordx2 s[0:1], s[4:5], 0x10
	v_mov_b32_e32 v0, 0
	ds_read_b32 v4, v0 offset:3072
	v_or_b32_e32 v5, 1, v12
	v_or_b32_e32 v6, 2, v12
	s_waitcnt lgkmcnt(0)
	v_mov_b32_e32 v1, s1
	v_add_co_u32_e32 v2, vcc, s0, v12
	v_addc_co_u32_e32 v3, vcc, 0, v1, vcc
	v_or_b32_e32 v7, 3, v12
	s_mov_b64 s[0:1], 0
	v_mov_b32_e32 v8, 0x201
	v_mov_b32_e32 v9, 0x400
	;; [unrolled: 1-line block ×5, first 2 shown]
	s_movk_i32 s7, 0x3ff
	s_mov_b32 s8, s6
	s_branch .LBB21_9
.LBB21_8:                               ;   in Loop: Header=BB21_9 Depth=1
	s_or_b64 exec, exec, s[2:3]
	s_add_u32 s0, s0, 0x400
	s_addc_u32 s1, s1, 0
	s_addk_i32 s8, 0xfc00
	s_cmp_lt_u32 s0, s6
	s_cbranch_scc0 .LBB21_35
.LBB21_9:                               ; =>This Inner Loop Header: Depth=1
	v_add_co_u32_e32 v0, vcc, s0, v10
	v_cmp_gt_u32_e32 vcc, v4, v0
	v_cndmask_b32_e32 v15, v13, v14, vcc
	v_lshlrev_b32_e32 v16, 2, v15
	ds_read_b32 v16, v16 offset:1024
	v_cndmask_b32_e64 v1, v8, 0, vcc
	v_cndmask_b32_e32 v17, v9, v11, vcc
	s_waitcnt lgkmcnt(1)
	v_or_b32_e32 v18, 1, v15
	s_waitcnt lgkmcnt(0)
	v_cmp_gt_u32_e32 vcc, v16, v0
	v_cndmask_b32_e32 v1, v18, v1, vcc
	v_cndmask_b32_e32 v15, v17, v15, vcc
	v_sub_u32_e32 v16, v15, v1
	v_lshrrev_b16_e32 v17, 15, v16
	v_add_u16_e32 v16, v16, v17
	v_ashrrev_i16_e32 v16, 1, v16
	v_add_u32_sdwa v16, v1, sext(v16) dst_sel:DWORD dst_unused:UNUSED_PAD src0_sel:DWORD src1_sel:WORD_0
	v_min_i32_e32 v16, 0x3ff, v16
	v_lshlrev_b32_e32 v17, 2, v16
	ds_read_b32 v17, v17 offset:1024
	v_add_u32_e32 v18, 1, v16
	s_waitcnt lgkmcnt(0)
	v_cmp_gt_u32_e32 vcc, v17, v0
	v_cndmask_b32_e32 v1, v18, v1, vcc
	v_cndmask_b32_e32 v15, v15, v16, vcc
	v_sub_u32_e32 v16, v15, v1
	v_lshrrev_b16_e32 v17, 15, v16
	v_add_u16_e32 v16, v16, v17
	v_ashrrev_i16_e32 v16, 1, v16
	v_add_u32_sdwa v16, v1, sext(v16) dst_sel:DWORD dst_unused:UNUSED_PAD src0_sel:DWORD src1_sel:WORD_0
	v_min_i32_e32 v16, 0x3ff, v16
	v_lshlrev_b32_e32 v17, 2, v16
	ds_read_b32 v17, v17 offset:1024
	v_add_u32_e32 v18, 1, v16
	;; [unrolled: 13-line block ×9, first 2 shown]
	s_waitcnt lgkmcnt(0)
	v_cmp_gt_u32_e32 vcc, v16, v0
	v_cndmask_b32_e32 v17, v15, v1, vcc
	v_add_u32_e32 v1, -1, v17
	v_cmp_ne_u32_e32 vcc, s7, v1
                                        ; implicit-def: $vgpr16
	s_and_saveexec_b64 s[2:3], vcc
	s_xor_b64 s[2:3], exec, s[2:3]
	s_cbranch_execz .LBB21_11
; %bb.10:                               ;   in Loop: Header=BB21_9 Depth=1
	v_lshlrev_b32_e32 v15, 2, v17
	ds_read_b32 v16, v15 offset:1024
.LBB21_11:                              ;   in Loop: Header=BB21_9 Depth=1
	s_andn2_saveexec_b64 s[2:3], s[2:3]
	s_cbranch_execz .LBB21_13
; %bb.12:                               ;   in Loop: Header=BB21_9 Depth=1
	s_waitcnt lgkmcnt(0)
	v_add_u32_e32 v16, 4, v0
.LBB21_13:                              ;   in Loop: Header=BB21_9 Depth=1
	s_or_b64 exec, exec, s[2:3]
	ds_read_u8 v15, v1
	s_waitcnt lgkmcnt(1)
	v_add_u32_e32 v18, -1, v16
	v_cmp_eq_u32_e32 vcc, v0, v18
	s_waitcnt lgkmcnt(0)
	v_mov_b32_e32 v16, v15
	s_and_saveexec_b64 s[2:3], vcc
	s_cbranch_execz .LBB21_19
; %bb.14:                               ;   in Loop: Header=BB21_9 Depth=1
	v_cmp_ne_u32_e32 vcc, s7, v17
                                        ; implicit-def: $vgpr1
	s_and_saveexec_b64 s[4:5], vcc
	s_xor_b64 s[4:5], exec, s[4:5]
	s_cbranch_execz .LBB21_16
; %bb.15:                               ;   in Loop: Header=BB21_9 Depth=1
	v_lshlrev_b32_e32 v1, 2, v17
	ds_read_b32 v1, v1 offset:1028
.LBB21_16:                              ;   in Loop: Header=BB21_9 Depth=1
	s_andn2_saveexec_b64 s[4:5], s[4:5]
	s_cbranch_execz .LBB21_18
; %bb.17:                               ;   in Loop: Header=BB21_9 Depth=1
	s_waitcnt lgkmcnt(0)
	v_add_u32_e32 v1, 4, v0
.LBB21_18:                              ;   in Loop: Header=BB21_9 Depth=1
	s_or_b64 exec, exec, s[4:5]
	ds_read_u8 v16, v17
	s_waitcnt lgkmcnt(1)
	v_add_u32_e32 v18, -1, v1
	v_mov_b32_e32 v1, v17
.LBB21_19:                              ;   in Loop: Header=BB21_9 Depth=1
	s_or_b64 exec, exec, s[2:3]
	v_add_u32_e32 v17, 1, v0
	v_cmp_eq_u32_e32 vcc, v17, v18
	s_waitcnt lgkmcnt(0)
	v_mov_b32_e32 v17, v16
	s_and_saveexec_b64 s[2:3], vcc
	s_cbranch_execz .LBB21_25
; %bb.20:                               ;   in Loop: Header=BB21_9 Depth=1
	v_add_u32_e32 v19, 1, v1
	v_cmp_ne_u32_e32 vcc, s7, v19
                                        ; implicit-def: $vgpr18
	s_and_saveexec_b64 s[4:5], vcc
	s_xor_b64 s[4:5], exec, s[4:5]
	s_cbranch_execz .LBB21_22
; %bb.21:                               ;   in Loop: Header=BB21_9 Depth=1
	v_lshlrev_b32_e32 v1, 2, v1
	ds_read_b32 v18, v1 offset:1032
.LBB21_22:                              ;   in Loop: Header=BB21_9 Depth=1
	s_andn2_saveexec_b64 s[4:5], s[4:5]
	s_cbranch_execz .LBB21_24
; %bb.23:                               ;   in Loop: Header=BB21_9 Depth=1
	s_waitcnt lgkmcnt(0)
	v_add_u32_e32 v18, 5, v0
.LBB21_24:                              ;   in Loop: Header=BB21_9 Depth=1
	s_or_b64 exec, exec, s[4:5]
	ds_read_u8 v17, v19
	s_waitcnt lgkmcnt(1)
	v_add_u32_e32 v18, -1, v18
	v_mov_b32_e32 v1, v19
.LBB21_25:                              ;   in Loop: Header=BB21_9 Depth=1
	s_or_b64 exec, exec, s[2:3]
	v_add_u32_e32 v0, 2, v0
	v_cmp_eq_u32_e32 vcc, v0, v18
	s_waitcnt lgkmcnt(0)
	v_mov_b32_e32 v18, v17
	s_and_saveexec_b64 s[2:3], vcc
	s_cbranch_execz .LBB21_27
; %bb.26:                               ;   in Loop: Header=BB21_9 Depth=1
	ds_read_u8 v18, v1 offset:1
.LBB21_27:                              ;   in Loop: Header=BB21_9 Depth=1
	s_or_b64 exec, exec, s[2:3]
	v_mov_b32_e32 v1, s1
	v_add_co_u32_e32 v0, vcc, s0, v2
	s_min_u32 s4, s8, 0x400
	v_addc_co_u32_e32 v1, vcc, v3, v1, vcc
	v_cmp_gt_u32_e32 vcc, s4, v12
	s_and_saveexec_b64 s[2:3], vcc
	s_cbranch_execnz .LBB21_31
; %bb.28:                               ;   in Loop: Header=BB21_9 Depth=1
	s_or_b64 exec, exec, s[2:3]
	v_cmp_gt_u32_e32 vcc, s4, v5
	s_and_saveexec_b64 s[2:3], vcc
	s_cbranch_execnz .LBB21_32
.LBB21_29:                              ;   in Loop: Header=BB21_9 Depth=1
	s_or_b64 exec, exec, s[2:3]
	v_cmp_gt_u32_e32 vcc, s4, v6
	s_and_saveexec_b64 s[2:3], vcc
	s_cbranch_execnz .LBB21_33
.LBB21_30:                              ;   in Loop: Header=BB21_9 Depth=1
	s_or_b64 exec, exec, s[2:3]
	v_cmp_gt_u32_e32 vcc, s4, v7
	s_and_saveexec_b64 s[2:3], vcc
	s_cbranch_execz .LBB21_8
	s_branch .LBB21_34
.LBB21_31:                              ;   in Loop: Header=BB21_9 Depth=1
	global_store_byte v[0:1], v15, off
	s_or_b64 exec, exec, s[2:3]
	v_cmp_gt_u32_e32 vcc, s4, v5
	s_and_saveexec_b64 s[2:3], vcc
	s_cbranch_execz .LBB21_29
.LBB21_32:                              ;   in Loop: Header=BB21_9 Depth=1
	global_store_byte v[0:1], v16, off offset:1
	s_or_b64 exec, exec, s[2:3]
	v_cmp_gt_u32_e32 vcc, s4, v6
	s_and_saveexec_b64 s[2:3], vcc
	s_cbranch_execz .LBB21_30
.LBB21_33:                              ;   in Loop: Header=BB21_9 Depth=1
	global_store_byte v[0:1], v17, off offset:2
	s_or_b64 exec, exec, s[2:3]
	v_cmp_gt_u32_e32 vcc, s4, v7
	s_and_saveexec_b64 s[2:3], vcc
	s_cbranch_execz .LBB21_8
.LBB21_34:                              ;   in Loop: Header=BB21_9 Depth=1
	s_waitcnt lgkmcnt(0)
	global_store_byte v[0:1], v18, off offset:3
	s_branch .LBB21_8
.LBB21_35:
	s_endpgm
	.section	.rodata,"a",@progbits
	.p2align	6, 0x0
	.amdhsa_kernel _Z30block_run_length_decode_kernelIcxLj256ELj4ELj4EEvPKT_PKT0_PS0_
		.amdhsa_group_segment_fixed_size 5120
		.amdhsa_private_segment_fixed_size 0
		.amdhsa_kernarg_size 24
		.amdhsa_user_sgpr_count 6
		.amdhsa_user_sgpr_private_segment_buffer 1
		.amdhsa_user_sgpr_dispatch_ptr 0
		.amdhsa_user_sgpr_queue_ptr 0
		.amdhsa_user_sgpr_kernarg_segment_ptr 1
		.amdhsa_user_sgpr_dispatch_id 0
		.amdhsa_user_sgpr_flat_scratch_init 0
		.amdhsa_user_sgpr_kernarg_preload_length 0
		.amdhsa_user_sgpr_kernarg_preload_offset 0
		.amdhsa_user_sgpr_private_segment_size 0
		.amdhsa_uses_dynamic_stack 0
		.amdhsa_system_sgpr_private_segment_wavefront_offset 0
		.amdhsa_system_sgpr_workgroup_id_x 1
		.amdhsa_system_sgpr_workgroup_id_y 0
		.amdhsa_system_sgpr_workgroup_id_z 0
		.amdhsa_system_sgpr_workgroup_info 0
		.amdhsa_system_vgpr_workitem_id 0
		.amdhsa_next_free_vgpr 20
		.amdhsa_next_free_sgpr 9
		.amdhsa_accum_offset 20
		.amdhsa_reserve_vcc 1
		.amdhsa_reserve_flat_scratch 0
		.amdhsa_float_round_mode_32 0
		.amdhsa_float_round_mode_16_64 0
		.amdhsa_float_denorm_mode_32 3
		.amdhsa_float_denorm_mode_16_64 3
		.amdhsa_dx10_clamp 1
		.amdhsa_ieee_mode 1
		.amdhsa_fp16_overflow 0
		.amdhsa_tg_split 0
		.amdhsa_exception_fp_ieee_invalid_op 0
		.amdhsa_exception_fp_denorm_src 0
		.amdhsa_exception_fp_ieee_div_zero 0
		.amdhsa_exception_fp_ieee_overflow 0
		.amdhsa_exception_fp_ieee_underflow 0
		.amdhsa_exception_fp_ieee_inexact 0
		.amdhsa_exception_int_div_zero 0
	.end_amdhsa_kernel
	.section	.text._Z30block_run_length_decode_kernelIcxLj256ELj4ELj4EEvPKT_PKT0_PS0_,"axG",@progbits,_Z30block_run_length_decode_kernelIcxLj256ELj4ELj4EEvPKT_PKT0_PS0_,comdat
.Lfunc_end21:
	.size	_Z30block_run_length_decode_kernelIcxLj256ELj4ELj4EEvPKT_PKT0_PS0_, .Lfunc_end21-_Z30block_run_length_decode_kernelIcxLj256ELj4ELj4EEvPKT_PKT0_PS0_
                                        ; -- End function
	.section	.AMDGPU.csdata,"",@progbits
; Kernel info:
; codeLenInByte = 1824
; NumSgprs: 13
; NumVgprs: 20
; NumAgprs: 0
; TotalNumVgprs: 20
; ScratchSize: 0
; MemoryBound: 0
; FloatMode: 240
; IeeeMode: 1
; LDSByteSize: 5120 bytes/workgroup (compile time only)
; SGPRBlocks: 1
; VGPRBlocks: 2
; NumSGPRsForWavesPerEU: 13
; NumVGPRsForWavesPerEU: 20
; AccumOffset: 20
; Occupancy: 8
; WaveLimiterHint : 0
; COMPUTE_PGM_RSRC2:SCRATCH_EN: 0
; COMPUTE_PGM_RSRC2:USER_SGPR: 6
; COMPUTE_PGM_RSRC2:TRAP_HANDLER: 0
; COMPUTE_PGM_RSRC2:TGID_X_EN: 1
; COMPUTE_PGM_RSRC2:TGID_Y_EN: 0
; COMPUTE_PGM_RSRC2:TGID_Z_EN: 0
; COMPUTE_PGM_RSRC2:TIDIG_COMP_CNT: 0
; COMPUTE_PGM_RSRC3_GFX90A:ACCUM_OFFSET: 4
; COMPUTE_PGM_RSRC3_GFX90A:TG_SPLIT: 0
	.section	.text._Z30block_run_length_decode_kernelIdcLj256ELj4ELj4EEvPKT_PKT0_PS0_,"axG",@progbits,_Z30block_run_length_decode_kernelIdcLj256ELj4ELj4EEvPKT_PKT0_PS0_,comdat
	.protected	_Z30block_run_length_decode_kernelIdcLj256ELj4ELj4EEvPKT_PKT0_PS0_ ; -- Begin function _Z30block_run_length_decode_kernelIdcLj256ELj4ELj4EEvPKT_PKT0_PS0_
	.globl	_Z30block_run_length_decode_kernelIdcLj256ELj4ELj4EEvPKT_PKT0_PS0_
	.p2align	8
	.type	_Z30block_run_length_decode_kernelIdcLj256ELj4ELj4EEvPKT_PKT0_PS0_,@function
_Z30block_run_length_decode_kernelIdcLj256ELj4ELj4EEvPKT_PKT0_PS0_: ; @_Z30block_run_length_decode_kernelIdcLj256ELj4ELj4EEvPKT_PKT0_PS0_
; %bb.0:
	s_load_dwordx4 s[0:3], s[4:5], 0x0
	v_lshlrev_b32_e32 v14, 2, v0
	v_lshl_or_b32 v10, s6, 10, v14
	v_mov_b32_e32 v11, 0
	v_lshlrev_b64 v[12:13], 3, v[10:11]
	s_waitcnt lgkmcnt(0)
	global_load_dword v1, v10, s[2:3]
	v_mov_b32_e32 v2, s1
	v_add_co_u32_e32 v16, vcc, s0, v12
	v_addc_co_u32_e32 v17, vcc, v2, v13, vcc
	global_load_dwordx4 v[2:5], v[16:17], off offset:16
	global_load_dwordx4 v[6:9], v[16:17], off
	v_mbcnt_lo_u32_b32 v11, -1, 0
	v_mbcnt_hi_u32_b32 v11, -1, v11
	v_and_b32_e32 v17, 15, v11
	v_cmp_ne_u32_e32 vcc, 0, v17
	v_bfe_i32 v19, v11, 4, 1
	v_or_b32_e32 v18, 63, v0
	v_lshrrev_b32_e32 v16, 6, v0
	s_waitcnt vmcnt(2)
	v_bfe_i32 v15, v1, 16, 8
	v_ashrrev_i32_e32 v20, 24, v1
	v_add_u32_sdwa v21, sext(v1), sext(v1) dst_sel:DWORD dst_unused:UNUSED_PAD src0_sel:BYTE_1 src1_sel:BYTE_0
	v_add3_u32 v20, v21, v15, v20
	s_nop 1
	v_mov_b32_dpp v21, v20 row_shr:1 row_mask:0xf bank_mask:0xf
	v_cndmask_b32_e32 v21, 0, v21, vcc
	v_add_u32_e32 v20, v21, v20
	v_cmp_lt_u32_e32 vcc, 1, v17
	s_nop 0
	v_mov_b32_dpp v21, v20 row_shr:2 row_mask:0xf bank_mask:0xf
	v_cndmask_b32_e32 v21, 0, v21, vcc
	v_add_u32_e32 v20, v20, v21
	v_cmp_lt_u32_e32 vcc, 3, v17
	;; [unrolled: 5-line block ×4, first 2 shown]
	s_nop 0
	v_mov_b32_dpp v20, v17 row_bcast:15 row_mask:0xf bank_mask:0xf
	v_and_b32_e32 v19, v19, v20
	v_add_u32_e32 v17, v17, v19
	s_nop 1
	v_mov_b32_dpp v19, v17 row_bcast:31 row_mask:0xf bank_mask:0xf
	v_cndmask_b32_e32 v19, 0, v19, vcc
	v_add_u32_e32 v17, v17, v19
	v_cmp_eq_u32_e32 vcc, v18, v0
	s_and_saveexec_b64 s[0:1], vcc
	s_cbranch_execz .LBB22_2
; %bb.1:
	v_lshlrev_b32_e32 v18, 2, v16
	ds_write_b32 v18, v17
.LBB22_2:
	s_or_b64 exec, exec, s[0:1]
	v_cmp_gt_u32_e32 vcc, 4, v0
	s_waitcnt lgkmcnt(0)
	s_barrier
	s_and_saveexec_b64 s[0:1], vcc
	s_cbranch_execz .LBB22_4
; %bb.3:
	ds_read_b32 v18, v14
	v_and_b32_e32 v19, 3, v11
	v_cmp_ne_u32_e32 vcc, 0, v19
	s_waitcnt lgkmcnt(0)
	v_mov_b32_dpp v20, v18 row_shr:1 row_mask:0xf bank_mask:0xf
	v_cndmask_b32_e32 v20, 0, v20, vcc
	v_add_u32_e32 v18, v20, v18
	v_cmp_lt_u32_e32 vcc, 1, v19
	s_nop 0
	v_mov_b32_dpp v20, v18 row_shr:2 row_mask:0xf bank_mask:0xf
	v_cndmask_b32_e32 v19, 0, v20, vcc
	v_add_u32_e32 v18, v18, v19
	ds_write_b32 v14, v18
.LBB22_4:
	s_or_b64 exec, exec, s[0:1]
	v_cmp_lt_u32_e32 vcc, 63, v0
	v_mov_b32_e32 v18, 0
	v_mov_b32_e32 v19, 0
	s_waitcnt lgkmcnt(0)
	s_barrier
	s_and_saveexec_b64 s[0:1], vcc
	s_cbranch_execz .LBB22_6
; %bb.5:
	v_lshl_add_u32 v16, v16, 2, -4
	ds_read_b32 v19, v16
.LBB22_6:
	s_or_b64 exec, exec, s[0:1]
	s_waitcnt lgkmcnt(0)
	v_add_u32_e32 v16, v19, v17
	v_add_u32_e32 v17, -1, v11
	v_and_b32_e32 v20, 64, v11
	v_cmp_lt_i32_e32 vcc, v17, v20
	v_cndmask_b32_e32 v17, v17, v11, vcc
	v_lshlrev_b32_e32 v17, 2, v17
	ds_bpermute_b32 v16, v17, v16
	v_cmp_eq_u32_e32 vcc, 0, v11
	s_mov_b32 s6, 0
	v_lshlrev_b32_e32 v17, 3, v14
	s_waitcnt lgkmcnt(0)
	v_cndmask_b32_e32 v11, v16, v19, vcc
	ds_read_b32 v16, v18 offset:12
	v_cmp_ne_u32_e32 vcc, 0, v0
	v_cndmask_b32_e32 v0, 0, v11, vcc
	v_add_u32_sdwa v11, v0, sext(v1) dst_sel:DWORD dst_unused:UNUSED_PAD src0_sel:DWORD src1_sel:BYTE_0
	v_add_u32_sdwa v1, v11, sext(v1) dst_sel:DWORD dst_unused:UNUSED_PAD src0_sel:DWORD src1_sel:BYTE_1
	s_waitcnt lgkmcnt(0)
	v_cmp_eq_u32_e32 vcc, 0, v16
	v_readfirstlane_b32 s7, v16
	v_lshlrev_b32_e32 v18, 2, v14
	s_and_b64 vcc, exec, vcc
	v_add_u32_e32 v15, v1, v15
	s_barrier
	v_or_b32_e32 v19, 0x2000, v18
	s_waitcnt vmcnt(0)
	ds_write2_b64 v17, v[6:7], v[8:9] offset1:1
	ds_write2_b32 v19, v0, v11 offset1:1
	ds_write_b32 v18, v1 offset:8200
	ds_write2_b64 v17, v[2:3], v[4:5] offset0:2 offset1:3
	ds_write_b32 v18, v15 offset:8204
	s_waitcnt lgkmcnt(0)
	s_barrier
	s_cbranch_vccnz .LBB22_35
; %bb.7:
	s_load_dwordx2 s[0:1], s[4:5], 0x10
	v_mov_b32_e32 v0, 0
	ds_read_b32 v11, v0 offset:10240
	v_or_b32_e32 v15, 1, v10
	v_or_b32_e32 v16, 2, v10
	s_waitcnt lgkmcnt(0)
	v_mov_b32_e32 v0, s1
	v_add_co_u32_e32 v1, vcc, s0, v12
	v_addc_co_u32_e32 v2, vcc, v13, v0, vcc
	v_add_co_u32_e32 v0, vcc, 16, v1
	v_or_b32_e32 v17, 3, v10
	v_addc_co_u32_e32 v1, vcc, 0, v2, vcc
	v_mov_b32_e32 v12, 0x201
	v_mov_b32_e32 v13, 0x400
	;; [unrolled: 1-line block ×5, first 2 shown]
	s_movk_i32 s4, 0x3ff
	s_mov_b32 s5, s7
	s_branch .LBB22_9
.LBB22_8:                               ;   in Loop: Header=BB22_9 Depth=1
	s_or_b64 exec, exec, s[0:1]
	s_addk_i32 s6, 0x400
	s_addk_i32 s5, 0xfc00
	v_add_co_u32_e32 v0, vcc, 0x2000, v0
	s_cmp_lt_u32 s6, s7
	v_addc_co_u32_e32 v1, vcc, 0, v1, vcc
	s_cbranch_scc0 .LBB22_35
.LBB22_9:                               ; =>This Inner Loop Header: Depth=1
	s_waitcnt lgkmcnt(0)
	v_add_u32_e32 v8, s6, v14
	v_cmp_gt_u32_e32 vcc, v11, v8
	v_cndmask_b32_e32 v3, v19, v20, vcc
	v_lshlrev_b32_e32 v4, 2, v3
	ds_read_b32 v4, v4 offset:8192
	v_cndmask_b32_e64 v2, v12, 0, vcc
	v_cndmask_b32_e32 v5, v13, v18, vcc
	v_or_b32_e32 v6, 1, v3
	s_waitcnt lgkmcnt(0)
	v_cmp_gt_u32_e32 vcc, v4, v8
	v_cndmask_b32_e32 v2, v6, v2, vcc
	v_cndmask_b32_e32 v3, v5, v3, vcc
	v_sub_u32_e32 v4, v3, v2
	v_lshrrev_b16_e32 v5, 15, v4
	v_add_u16_e32 v4, v4, v5
	v_ashrrev_i16_e32 v4, 1, v4
	v_add_u32_sdwa v4, v2, sext(v4) dst_sel:DWORD dst_unused:UNUSED_PAD src0_sel:DWORD src1_sel:WORD_0
	v_min_i32_e32 v4, 0x3ff, v4
	v_lshlrev_b32_e32 v5, 2, v4
	ds_read_b32 v5, v5 offset:8192
	v_add_u32_e32 v6, 1, v4
	s_waitcnt lgkmcnt(0)
	v_cmp_gt_u32_e32 vcc, v5, v8
	v_cndmask_b32_e32 v2, v6, v2, vcc
	v_cndmask_b32_e32 v3, v3, v4, vcc
	v_sub_u32_e32 v4, v3, v2
	v_lshrrev_b16_e32 v5, 15, v4
	v_add_u16_e32 v4, v4, v5
	v_ashrrev_i16_e32 v4, 1, v4
	v_add_u32_sdwa v4, v2, sext(v4) dst_sel:DWORD dst_unused:UNUSED_PAD src0_sel:DWORD src1_sel:WORD_0
	v_min_i32_e32 v4, 0x3ff, v4
	v_lshlrev_b32_e32 v5, 2, v4
	ds_read_b32 v5, v5 offset:8192
	v_add_u32_e32 v6, 1, v4
	;; [unrolled: 13-line block ×9, first 2 shown]
	s_waitcnt lgkmcnt(0)
	v_cmp_gt_u32_e32 vcc, v4, v8
	v_cndmask_b32_e32 v6, v3, v2, vcc
	v_add_u32_e32 v21, -1, v6
	v_cmp_ne_u32_e32 vcc, s4, v21
                                        ; implicit-def: $vgpr4
	s_and_saveexec_b64 s[0:1], vcc
	s_xor_b64 s[0:1], exec, s[0:1]
	s_cbranch_execz .LBB22_11
; %bb.10:                               ;   in Loop: Header=BB22_9 Depth=1
	v_lshlrev_b32_e32 v2, 2, v6
	ds_read_b32 v4, v2 offset:8192
.LBB22_11:                              ;   in Loop: Header=BB22_9 Depth=1
	s_andn2_saveexec_b64 s[0:1], s[0:1]
	s_cbranch_execz .LBB22_13
; %bb.12:                               ;   in Loop: Header=BB22_9 Depth=1
	s_waitcnt lgkmcnt(0)
	v_add_u32_e32 v4, 4, v8
.LBB22_13:                              ;   in Loop: Header=BB22_9 Depth=1
	s_or_b64 exec, exec, s[0:1]
	v_lshlrev_b32_e32 v2, 3, v21
	ds_read_b64 v[2:3], v2
	s_waitcnt lgkmcnt(1)
	v_add_u32_e32 v9, -1, v4
	v_cmp_eq_u32_e32 vcc, v8, v9
	s_waitcnt lgkmcnt(0)
	v_pk_mov_b32 v[4:5], v[2:3], v[2:3] op_sel:[0,1]
	s_and_saveexec_b64 s[0:1], vcc
	s_cbranch_execz .LBB22_19
; %bb.14:                               ;   in Loop: Header=BB22_9 Depth=1
	v_cmp_ne_u32_e32 vcc, s4, v6
                                        ; implicit-def: $vgpr7
	s_and_saveexec_b64 s[2:3], vcc
	s_xor_b64 s[2:3], exec, s[2:3]
	s_cbranch_execz .LBB22_16
; %bb.15:                               ;   in Loop: Header=BB22_9 Depth=1
	v_lshlrev_b32_e32 v4, 2, v6
	ds_read_b32 v7, v4 offset:8196
.LBB22_16:                              ;   in Loop: Header=BB22_9 Depth=1
	s_andn2_saveexec_b64 s[2:3], s[2:3]
	s_cbranch_execz .LBB22_18
; %bb.17:                               ;   in Loop: Header=BB22_9 Depth=1
	s_waitcnt lgkmcnt(0)
	v_add_u32_e32 v7, 4, v8
.LBB22_18:                              ;   in Loop: Header=BB22_9 Depth=1
	s_or_b64 exec, exec, s[2:3]
	v_lshlrev_b32_e32 v4, 3, v6
	ds_read_b64 v[4:5], v4
	s_waitcnt lgkmcnt(1)
	v_add_u32_e32 v9, -1, v7
	v_mov_b32_e32 v21, v6
.LBB22_19:                              ;   in Loop: Header=BB22_9 Depth=1
	s_or_b64 exec, exec, s[0:1]
	v_add_u32_e32 v6, 1, v8
	v_cmp_eq_u32_e32 vcc, v6, v9
	s_waitcnt lgkmcnt(0)
	v_pk_mov_b32 v[6:7], v[4:5], v[4:5] op_sel:[0,1]
	s_and_saveexec_b64 s[0:1], vcc
	s_cbranch_execz .LBB22_25
; %bb.20:                               ;   in Loop: Header=BB22_9 Depth=1
	v_add_u32_e32 v22, 1, v21
	v_cmp_ne_u32_e32 vcc, s4, v22
                                        ; implicit-def: $vgpr9
	s_and_saveexec_b64 s[2:3], vcc
	s_xor_b64 s[2:3], exec, s[2:3]
	s_cbranch_execz .LBB22_22
; %bb.21:                               ;   in Loop: Header=BB22_9 Depth=1
	v_lshlrev_b32_e32 v6, 2, v21
	ds_read_b32 v9, v6 offset:8200
.LBB22_22:                              ;   in Loop: Header=BB22_9 Depth=1
	s_andn2_saveexec_b64 s[2:3], s[2:3]
	s_cbranch_execz .LBB22_24
; %bb.23:                               ;   in Loop: Header=BB22_9 Depth=1
	s_waitcnt lgkmcnt(0)
	v_add_u32_e32 v9, 5, v8
.LBB22_24:                              ;   in Loop: Header=BB22_9 Depth=1
	s_or_b64 exec, exec, s[2:3]
	v_lshlrev_b32_e32 v6, 3, v22
	ds_read_b64 v[6:7], v6
	s_waitcnt lgkmcnt(1)
	v_add_u32_e32 v9, -1, v9
	v_mov_b32_e32 v21, v22
.LBB22_25:                              ;   in Loop: Header=BB22_9 Depth=1
	s_or_b64 exec, exec, s[0:1]
	v_add_u32_e32 v8, 2, v8
	v_cmp_eq_u32_e32 vcc, v8, v9
	s_waitcnt lgkmcnt(0)
	v_pk_mov_b32 v[8:9], v[6:7], v[6:7] op_sel:[0,1]
	s_and_saveexec_b64 s[0:1], vcc
	s_cbranch_execz .LBB22_27
; %bb.26:                               ;   in Loop: Header=BB22_9 Depth=1
	v_lshlrev_b32_e32 v8, 3, v21
	ds_read_b64 v[8:9], v8 offset:8
.LBB22_27:                              ;   in Loop: Header=BB22_9 Depth=1
	s_or_b64 exec, exec, s[0:1]
	s_min_u32 s2, s5, 0x400
	v_cmp_gt_u32_e32 vcc, s2, v10
	s_and_saveexec_b64 s[0:1], vcc
	s_cbranch_execnz .LBB22_31
; %bb.28:                               ;   in Loop: Header=BB22_9 Depth=1
	s_or_b64 exec, exec, s[0:1]
	v_cmp_gt_u32_e32 vcc, s2, v15
	s_and_saveexec_b64 s[0:1], vcc
	s_cbranch_execnz .LBB22_32
.LBB22_29:                              ;   in Loop: Header=BB22_9 Depth=1
	s_or_b64 exec, exec, s[0:1]
	v_cmp_gt_u32_e32 vcc, s2, v16
	s_and_saveexec_b64 s[0:1], vcc
	s_cbranch_execnz .LBB22_33
.LBB22_30:                              ;   in Loop: Header=BB22_9 Depth=1
	s_or_b64 exec, exec, s[0:1]
	v_cmp_gt_u32_e32 vcc, s2, v17
	s_and_saveexec_b64 s[0:1], vcc
	s_cbranch_execz .LBB22_8
	s_branch .LBB22_34
.LBB22_31:                              ;   in Loop: Header=BB22_9 Depth=1
	global_store_dwordx2 v[0:1], v[2:3], off offset:-16
	s_or_b64 exec, exec, s[0:1]
	v_cmp_gt_u32_e32 vcc, s2, v15
	s_and_saveexec_b64 s[0:1], vcc
	s_cbranch_execz .LBB22_29
.LBB22_32:                              ;   in Loop: Header=BB22_9 Depth=1
	global_store_dwordx2 v[0:1], v[4:5], off offset:-8
	s_or_b64 exec, exec, s[0:1]
	v_cmp_gt_u32_e32 vcc, s2, v16
	s_and_saveexec_b64 s[0:1], vcc
	s_cbranch_execz .LBB22_30
.LBB22_33:                              ;   in Loop: Header=BB22_9 Depth=1
	global_store_dwordx2 v[0:1], v[6:7], off
	s_or_b64 exec, exec, s[0:1]
	v_cmp_gt_u32_e32 vcc, s2, v17
	s_and_saveexec_b64 s[0:1], vcc
	s_cbranch_execz .LBB22_8
.LBB22_34:                              ;   in Loop: Header=BB22_9 Depth=1
	s_waitcnt lgkmcnt(0)
	global_store_dwordx2 v[0:1], v[8:9], off offset:8
	s_branch .LBB22_8
.LBB22_35:
	s_endpgm
	.section	.rodata,"a",@progbits
	.p2align	6, 0x0
	.amdhsa_kernel _Z30block_run_length_decode_kernelIdcLj256ELj4ELj4EEvPKT_PKT0_PS0_
		.amdhsa_group_segment_fixed_size 12288
		.amdhsa_private_segment_fixed_size 0
		.amdhsa_kernarg_size 24
		.amdhsa_user_sgpr_count 6
		.amdhsa_user_sgpr_private_segment_buffer 1
		.amdhsa_user_sgpr_dispatch_ptr 0
		.amdhsa_user_sgpr_queue_ptr 0
		.amdhsa_user_sgpr_kernarg_segment_ptr 1
		.amdhsa_user_sgpr_dispatch_id 0
		.amdhsa_user_sgpr_flat_scratch_init 0
		.amdhsa_user_sgpr_kernarg_preload_length 0
		.amdhsa_user_sgpr_kernarg_preload_offset 0
		.amdhsa_user_sgpr_private_segment_size 0
		.amdhsa_uses_dynamic_stack 0
		.amdhsa_system_sgpr_private_segment_wavefront_offset 0
		.amdhsa_system_sgpr_workgroup_id_x 1
		.amdhsa_system_sgpr_workgroup_id_y 0
		.amdhsa_system_sgpr_workgroup_id_z 0
		.amdhsa_system_sgpr_workgroup_info 0
		.amdhsa_system_vgpr_workitem_id 0
		.amdhsa_next_free_vgpr 23
		.amdhsa_next_free_sgpr 8
		.amdhsa_accum_offset 24
		.amdhsa_reserve_vcc 1
		.amdhsa_reserve_flat_scratch 0
		.amdhsa_float_round_mode_32 0
		.amdhsa_float_round_mode_16_64 0
		.amdhsa_float_denorm_mode_32 3
		.amdhsa_float_denorm_mode_16_64 3
		.amdhsa_dx10_clamp 1
		.amdhsa_ieee_mode 1
		.amdhsa_fp16_overflow 0
		.amdhsa_tg_split 0
		.amdhsa_exception_fp_ieee_invalid_op 0
		.amdhsa_exception_fp_denorm_src 0
		.amdhsa_exception_fp_ieee_div_zero 0
		.amdhsa_exception_fp_ieee_overflow 0
		.amdhsa_exception_fp_ieee_underflow 0
		.amdhsa_exception_fp_ieee_inexact 0
		.amdhsa_exception_int_div_zero 0
	.end_amdhsa_kernel
	.section	.text._Z30block_run_length_decode_kernelIdcLj256ELj4ELj4EEvPKT_PKT0_PS0_,"axG",@progbits,_Z30block_run_length_decode_kernelIdcLj256ELj4ELj4EEvPKT_PKT0_PS0_,comdat
.Lfunc_end22:
	.size	_Z30block_run_length_decode_kernelIdcLj256ELj4ELj4EEvPKT_PKT0_PS0_, .Lfunc_end22-_Z30block_run_length_decode_kernelIdcLj256ELj4ELj4EEvPKT_PKT0_PS0_
                                        ; -- End function
	.section	.AMDGPU.csdata,"",@progbits
; Kernel info:
; codeLenInByte = 1888
; NumSgprs: 12
; NumVgprs: 23
; NumAgprs: 0
; TotalNumVgprs: 23
; ScratchSize: 0
; MemoryBound: 0
; FloatMode: 240
; IeeeMode: 1
; LDSByteSize: 12288 bytes/workgroup (compile time only)
; SGPRBlocks: 1
; VGPRBlocks: 2
; NumSGPRsForWavesPerEU: 12
; NumVGPRsForWavesPerEU: 23
; AccumOffset: 24
; Occupancy: 5
; WaveLimiterHint : 0
; COMPUTE_PGM_RSRC2:SCRATCH_EN: 0
; COMPUTE_PGM_RSRC2:USER_SGPR: 6
; COMPUTE_PGM_RSRC2:TRAP_HANDLER: 0
; COMPUTE_PGM_RSRC2:TGID_X_EN: 1
; COMPUTE_PGM_RSRC2:TGID_Y_EN: 0
; COMPUTE_PGM_RSRC2:TGID_Z_EN: 0
; COMPUTE_PGM_RSRC2:TIDIG_COMP_CNT: 0
; COMPUTE_PGM_RSRC3_GFX90A:ACCUM_OFFSET: 5
; COMPUTE_PGM_RSRC3_GFX90A:TG_SPLIT: 0
	.section	.text._Z30block_run_length_decode_kernelIiiLj256ELj4ELj4EEvPKT_PKT0_PS0_,"axG",@progbits,_Z30block_run_length_decode_kernelIiiLj256ELj4ELj4EEvPKT_PKT0_PS0_,comdat
	.protected	_Z30block_run_length_decode_kernelIiiLj256ELj4ELj4EEvPKT_PKT0_PS0_ ; -- Begin function _Z30block_run_length_decode_kernelIiiLj256ELj4ELj4EEvPKT_PKT0_PS0_
	.globl	_Z30block_run_length_decode_kernelIiiLj256ELj4ELj4EEvPKT_PKT0_PS0_
	.p2align	8
	.type	_Z30block_run_length_decode_kernelIiiLj256ELj4ELj4EEvPKT_PKT0_PS0_,@function
_Z30block_run_length_decode_kernelIiiLj256ELj4ELj4EEvPKT_PKT0_PS0_: ; @_Z30block_run_length_decode_kernelIiiLj256ELj4ELj4EEvPKT_PKT0_PS0_
; %bb.0:
	s_load_dwordx4 s[0:3], s[4:5], 0x0
	v_lshlrev_b32_e32 v14, 2, v0
	v_lshl_or_b32 v10, s6, 10, v14
	v_mov_b32_e32 v11, 0
	v_lshlrev_b64 v[12:13], 2, v[10:11]
	s_waitcnt lgkmcnt(0)
	v_mov_b32_e32 v1, s3
	v_add_co_u32_e32 v2, vcc, s2, v12
	v_addc_co_u32_e32 v3, vcc, v1, v13, vcc
	global_load_dwordx4 v[6:9], v[2:3], off
	v_mov_b32_e32 v1, s1
	v_add_co_u32_e32 v2, vcc, s0, v12
	v_addc_co_u32_e32 v3, vcc, v1, v13, vcc
	global_load_dwordx4 v[2:5], v[2:3], off
	v_mbcnt_lo_u32_b32 v1, -1, 0
	v_mbcnt_hi_u32_b32 v1, -1, v1
	v_and_b32_e32 v16, 15, v1
	v_cmp_ne_u32_e32 vcc, 0, v16
	v_bfe_i32 v17, v1, 4, 1
	v_or_b32_e32 v15, 63, v0
	v_lshrrev_b32_e32 v11, 6, v0
	s_waitcnt vmcnt(1)
	v_add_u32_e32 v18, v7, v6
	v_add3_u32 v9, v18, v8, v9
	s_nop 1
	v_mov_b32_dpp v18, v9 row_shr:1 row_mask:0xf bank_mask:0xf
	v_cndmask_b32_e32 v18, 0, v18, vcc
	v_add_u32_e32 v9, v18, v9
	v_cmp_lt_u32_e32 vcc, 1, v16
	s_nop 0
	v_mov_b32_dpp v18, v9 row_shr:2 row_mask:0xf bank_mask:0xf
	v_cndmask_b32_e32 v18, 0, v18, vcc
	v_add_u32_e32 v9, v9, v18
	v_cmp_lt_u32_e32 vcc, 3, v16
	;; [unrolled: 5-line block ×4, first 2 shown]
	s_nop 0
	v_mov_b32_dpp v16, v9 row_bcast:15 row_mask:0xf bank_mask:0xf
	v_and_b32_e32 v16, v17, v16
	v_add_u32_e32 v9, v9, v16
	s_nop 1
	v_mov_b32_dpp v16, v9 row_bcast:31 row_mask:0xf bank_mask:0xf
	v_cndmask_b32_e32 v16, 0, v16, vcc
	v_add_u32_e32 v9, v9, v16
	v_cmp_eq_u32_e32 vcc, v15, v0
	s_and_saveexec_b64 s[0:1], vcc
	s_cbranch_execz .LBB23_2
; %bb.1:
	v_lshlrev_b32_e32 v15, 2, v11
	ds_write_b32 v15, v9
.LBB23_2:
	s_or_b64 exec, exec, s[0:1]
	v_cmp_gt_u32_e32 vcc, 4, v0
	s_waitcnt lgkmcnt(0)
	s_barrier
	s_and_saveexec_b64 s[0:1], vcc
	s_cbranch_execz .LBB23_4
; %bb.3:
	ds_read_b32 v15, v14
	v_and_b32_e32 v16, 3, v1
	v_cmp_ne_u32_e32 vcc, 0, v16
	s_waitcnt lgkmcnt(0)
	v_mov_b32_dpp v17, v15 row_shr:1 row_mask:0xf bank_mask:0xf
	v_cndmask_b32_e32 v17, 0, v17, vcc
	v_add_u32_e32 v15, v17, v15
	v_cmp_lt_u32_e32 vcc, 1, v16
	s_nop 0
	v_mov_b32_dpp v17, v15 row_shr:2 row_mask:0xf bank_mask:0xf
	v_cndmask_b32_e32 v16, 0, v17, vcc
	v_add_u32_e32 v15, v15, v16
	ds_write_b32 v14, v15
.LBB23_4:
	s_or_b64 exec, exec, s[0:1]
	v_cmp_lt_u32_e32 vcc, 63, v0
	v_mov_b32_e32 v15, 0
	v_mov_b32_e32 v16, 0
	s_waitcnt lgkmcnt(0)
	s_barrier
	s_and_saveexec_b64 s[0:1], vcc
	s_cbranch_execz .LBB23_6
; %bb.5:
	v_lshl_add_u32 v11, v11, 2, -4
	ds_read_b32 v16, v11
.LBB23_6:
	s_or_b64 exec, exec, s[0:1]
	v_add_u32_e32 v11, -1, v1
	v_and_b32_e32 v17, 64, v1
	v_cmp_lt_i32_e32 vcc, v11, v17
	v_cndmask_b32_e32 v11, v11, v1, vcc
	s_waitcnt lgkmcnt(0)
	v_add_u32_e32 v9, v16, v9
	v_lshlrev_b32_e32 v11, 2, v11
	ds_bpermute_b32 v9, v11, v9
	v_cmp_eq_u32_e32 vcc, 0, v1
	s_mov_b32 s6, 0
	s_waitcnt lgkmcnt(0)
	v_cndmask_b32_e32 v1, v9, v16, vcc
	ds_read_b32 v9, v15 offset:12
	v_cmp_ne_u32_e32 vcc, 0, v0
	v_cndmask_b32_e32 v0, 0, v1, vcc
	v_add_u32_e32 v1, v0, v6
	v_add_u32_e32 v6, v1, v7
	s_waitcnt lgkmcnt(0)
	v_cmp_eq_u32_e32 vcc, 0, v9
	v_add_u32_e32 v7, v6, v8
	v_readfirstlane_b32 s7, v9
	v_lshlrev_b32_e32 v8, 2, v14
	s_and_b64 vcc, exec, vcc
	s_barrier
	v_or_b32_e32 v11, 0x1000, v8
	s_waitcnt vmcnt(0)
	ds_write2_b32 v8, v2, v3 offset1:1
	ds_write2_b32 v11, v0, v1 offset1:1
	v_add_u32_e32 v0, 0x1008, v8
	ds_write2_b32 v8, v4, v5 offset0:2 offset1:3
	ds_write2_b32 v0, v6, v7 offset1:1
	s_waitcnt lgkmcnt(0)
	s_barrier
	s_cbranch_vccnz .LBB23_35
; %bb.7:
	s_load_dwordx2 s[0:1], s[4:5], 0x10
	v_mov_b32_e32 v0, 0
	ds_read_b32 v2, v0 offset:6144
	v_or_b32_e32 v3, 1, v10
	v_or_b32_e32 v4, 2, v10
	s_waitcnt lgkmcnt(0)
	v_mov_b32_e32 v0, s1
	v_add_co_u32_e32 v1, vcc, s0, v12
	v_addc_co_u32_e32 v6, vcc, v13, v0, vcc
	v_add_co_u32_e32 v0, vcc, 8, v1
	v_or_b32_e32 v5, 3, v10
	v_addc_co_u32_e32 v1, vcc, 0, v6, vcc
	v_mov_b32_e32 v6, 0x201
	v_mov_b32_e32 v7, 0x400
	;; [unrolled: 1-line block ×5, first 2 shown]
	s_movk_i32 s4, 0x3ff
	s_mov_b32 s5, s7
	s_branch .LBB23_9
.LBB23_8:                               ;   in Loop: Header=BB23_9 Depth=1
	s_or_b64 exec, exec, s[0:1]
	s_addk_i32 s6, 0x400
	s_addk_i32 s5, 0xfc00
	v_add_co_u32_e32 v0, vcc, 0x1000, v0
	s_cmp_lt_u32 s6, s7
	v_addc_co_u32_e32 v1, vcc, 0, v1, vcc
	s_cbranch_scc0 .LBB23_35
.LBB23_9:                               ; =>This Inner Loop Header: Depth=1
	s_waitcnt lgkmcnt(0)
	v_add_u32_e32 v12, s6, v14
	v_cmp_gt_u32_e32 vcc, v2, v12
	v_cndmask_b32_e32 v15, v9, v11, vcc
	v_lshlrev_b32_e32 v16, 2, v15
	ds_read_b32 v16, v16 offset:4096
	v_cndmask_b32_e64 v13, v6, 0, vcc
	v_cndmask_b32_e32 v17, v7, v8, vcc
	v_or_b32_e32 v18, 1, v15
	s_waitcnt lgkmcnt(0)
	v_cmp_gt_u32_e32 vcc, v16, v12
	v_cndmask_b32_e32 v13, v18, v13, vcc
	v_cndmask_b32_e32 v15, v17, v15, vcc
	v_sub_u32_e32 v16, v15, v13
	v_lshrrev_b16_e32 v17, 15, v16
	v_add_u16_e32 v16, v16, v17
	v_ashrrev_i16_e32 v16, 1, v16
	v_add_u32_sdwa v16, v13, sext(v16) dst_sel:DWORD dst_unused:UNUSED_PAD src0_sel:DWORD src1_sel:WORD_0
	v_min_i32_e32 v16, 0x3ff, v16
	v_lshlrev_b32_e32 v17, 2, v16
	ds_read_b32 v17, v17 offset:4096
	v_add_u32_e32 v18, 1, v16
	s_waitcnt lgkmcnt(0)
	v_cmp_gt_u32_e32 vcc, v17, v12
	v_cndmask_b32_e32 v13, v18, v13, vcc
	v_cndmask_b32_e32 v15, v15, v16, vcc
	v_sub_u32_e32 v16, v15, v13
	v_lshrrev_b16_e32 v17, 15, v16
	v_add_u16_e32 v16, v16, v17
	v_ashrrev_i16_e32 v16, 1, v16
	v_add_u32_sdwa v16, v13, sext(v16) dst_sel:DWORD dst_unused:UNUSED_PAD src0_sel:DWORD src1_sel:WORD_0
	v_min_i32_e32 v16, 0x3ff, v16
	v_lshlrev_b32_e32 v17, 2, v16
	ds_read_b32 v17, v17 offset:4096
	v_add_u32_e32 v18, 1, v16
	;; [unrolled: 13-line block ×9, first 2 shown]
	s_waitcnt lgkmcnt(0)
	v_cmp_gt_u32_e32 vcc, v16, v12
	v_cndmask_b32_e32 v17, v15, v13, vcc
	v_add_u32_e32 v16, -1, v17
	v_cmp_ne_u32_e32 vcc, s4, v16
                                        ; implicit-def: $vgpr15
	s_and_saveexec_b64 s[0:1], vcc
	s_xor_b64 s[0:1], exec, s[0:1]
	s_cbranch_execz .LBB23_11
; %bb.10:                               ;   in Loop: Header=BB23_9 Depth=1
	v_lshlrev_b32_e32 v13, 2, v17
	ds_read_b32 v15, v13 offset:4096
.LBB23_11:                              ;   in Loop: Header=BB23_9 Depth=1
	s_andn2_saveexec_b64 s[0:1], s[0:1]
	s_cbranch_execz .LBB23_13
; %bb.12:                               ;   in Loop: Header=BB23_9 Depth=1
	s_waitcnt lgkmcnt(0)
	v_add_u32_e32 v15, 4, v12
.LBB23_13:                              ;   in Loop: Header=BB23_9 Depth=1
	s_or_b64 exec, exec, s[0:1]
	v_lshlrev_b32_e32 v13, 2, v16
	ds_read_b32 v13, v13
	s_waitcnt lgkmcnt(1)
	v_add_u32_e32 v18, -1, v15
	v_cmp_eq_u32_e32 vcc, v12, v18
	s_waitcnt lgkmcnt(0)
	v_mov_b32_e32 v15, v13
	s_and_saveexec_b64 s[0:1], vcc
	s_cbranch_execz .LBB23_19
; %bb.14:                               ;   in Loop: Header=BB23_9 Depth=1
	v_cmp_ne_u32_e32 vcc, s4, v17
	v_lshlrev_b32_e32 v15, 2, v17
                                        ; implicit-def: $vgpr16
	s_and_saveexec_b64 s[2:3], vcc
	s_xor_b64 s[2:3], exec, s[2:3]
	s_cbranch_execz .LBB23_16
; %bb.15:                               ;   in Loop: Header=BB23_9 Depth=1
	ds_read_b32 v16, v15 offset:4100
.LBB23_16:                              ;   in Loop: Header=BB23_9 Depth=1
	s_andn2_saveexec_b64 s[2:3], s[2:3]
	s_cbranch_execz .LBB23_18
; %bb.17:                               ;   in Loop: Header=BB23_9 Depth=1
	s_waitcnt lgkmcnt(0)
	v_add_u32_e32 v16, 4, v12
.LBB23_18:                              ;   in Loop: Header=BB23_9 Depth=1
	s_or_b64 exec, exec, s[2:3]
	ds_read_b32 v15, v15
	s_waitcnt lgkmcnt(1)
	v_add_u32_e32 v18, -1, v16
	v_mov_b32_e32 v16, v17
.LBB23_19:                              ;   in Loop: Header=BB23_9 Depth=1
	s_or_b64 exec, exec, s[0:1]
	v_add_u32_e32 v17, 1, v12
	v_cmp_eq_u32_e32 vcc, v17, v18
	s_waitcnt lgkmcnt(0)
	v_mov_b32_e32 v17, v15
	s_and_saveexec_b64 s[0:1], vcc
	s_cbranch_execz .LBB23_25
; %bb.20:                               ;   in Loop: Header=BB23_9 Depth=1
	v_add_u32_e32 v19, 1, v16
	v_cmp_ne_u32_e32 vcc, s4, v19
                                        ; implicit-def: $vgpr18
	s_and_saveexec_b64 s[2:3], vcc
	s_xor_b64 s[2:3], exec, s[2:3]
	s_cbranch_execz .LBB23_22
; %bb.21:                               ;   in Loop: Header=BB23_9 Depth=1
	v_lshlrev_b32_e32 v16, 2, v16
	ds_read_b32 v18, v16 offset:4104
.LBB23_22:                              ;   in Loop: Header=BB23_9 Depth=1
	s_andn2_saveexec_b64 s[2:3], s[2:3]
	s_cbranch_execz .LBB23_24
; %bb.23:                               ;   in Loop: Header=BB23_9 Depth=1
	s_waitcnt lgkmcnt(0)
	v_add_u32_e32 v18, 5, v12
.LBB23_24:                              ;   in Loop: Header=BB23_9 Depth=1
	s_or_b64 exec, exec, s[2:3]
	v_lshlrev_b32_e32 v16, 2, v19
	ds_read_b32 v17, v16
	s_waitcnt lgkmcnt(1)
	v_add_u32_e32 v18, -1, v18
	v_mov_b32_e32 v16, v19
.LBB23_25:                              ;   in Loop: Header=BB23_9 Depth=1
	s_or_b64 exec, exec, s[0:1]
	v_add_u32_e32 v12, 2, v12
	v_cmp_eq_u32_e32 vcc, v12, v18
	s_waitcnt lgkmcnt(0)
	v_mov_b32_e32 v12, v17
	s_and_saveexec_b64 s[0:1], vcc
	s_cbranch_execz .LBB23_27
; %bb.26:                               ;   in Loop: Header=BB23_9 Depth=1
	v_lshlrev_b32_e32 v12, 2, v16
	ds_read_b32 v12, v12 offset:4
.LBB23_27:                              ;   in Loop: Header=BB23_9 Depth=1
	s_or_b64 exec, exec, s[0:1]
	s_min_u32 s2, s5, 0x400
	v_cmp_gt_u32_e32 vcc, s2, v10
	s_and_saveexec_b64 s[0:1], vcc
	s_cbranch_execnz .LBB23_31
; %bb.28:                               ;   in Loop: Header=BB23_9 Depth=1
	s_or_b64 exec, exec, s[0:1]
	v_cmp_gt_u32_e32 vcc, s2, v3
	s_and_saveexec_b64 s[0:1], vcc
	s_cbranch_execnz .LBB23_32
.LBB23_29:                              ;   in Loop: Header=BB23_9 Depth=1
	s_or_b64 exec, exec, s[0:1]
	v_cmp_gt_u32_e32 vcc, s2, v4
	s_and_saveexec_b64 s[0:1], vcc
	s_cbranch_execnz .LBB23_33
.LBB23_30:                              ;   in Loop: Header=BB23_9 Depth=1
	s_or_b64 exec, exec, s[0:1]
	v_cmp_gt_u32_e32 vcc, s2, v5
	s_and_saveexec_b64 s[0:1], vcc
	s_cbranch_execz .LBB23_8
	s_branch .LBB23_34
.LBB23_31:                              ;   in Loop: Header=BB23_9 Depth=1
	global_store_dword v[0:1], v13, off offset:-8
	s_or_b64 exec, exec, s[0:1]
	v_cmp_gt_u32_e32 vcc, s2, v3
	s_and_saveexec_b64 s[0:1], vcc
	s_cbranch_execz .LBB23_29
.LBB23_32:                              ;   in Loop: Header=BB23_9 Depth=1
	global_store_dword v[0:1], v15, off offset:-4
	s_or_b64 exec, exec, s[0:1]
	v_cmp_gt_u32_e32 vcc, s2, v4
	s_and_saveexec_b64 s[0:1], vcc
	s_cbranch_execz .LBB23_30
.LBB23_33:                              ;   in Loop: Header=BB23_9 Depth=1
	global_store_dword v[0:1], v17, off
	s_or_b64 exec, exec, s[0:1]
	v_cmp_gt_u32_e32 vcc, s2, v5
	s_and_saveexec_b64 s[0:1], vcc
	s_cbranch_execz .LBB23_8
.LBB23_34:                              ;   in Loop: Header=BB23_9 Depth=1
	s_waitcnt lgkmcnt(0)
	global_store_dword v[0:1], v12, off offset:4
	s_branch .LBB23_8
.LBB23_35:
	s_endpgm
	.section	.rodata,"a",@progbits
	.p2align	6, 0x0
	.amdhsa_kernel _Z30block_run_length_decode_kernelIiiLj256ELj4ELj4EEvPKT_PKT0_PS0_
		.amdhsa_group_segment_fixed_size 8192
		.amdhsa_private_segment_fixed_size 0
		.amdhsa_kernarg_size 24
		.amdhsa_user_sgpr_count 6
		.amdhsa_user_sgpr_private_segment_buffer 1
		.amdhsa_user_sgpr_dispatch_ptr 0
		.amdhsa_user_sgpr_queue_ptr 0
		.amdhsa_user_sgpr_kernarg_segment_ptr 1
		.amdhsa_user_sgpr_dispatch_id 0
		.amdhsa_user_sgpr_flat_scratch_init 0
		.amdhsa_user_sgpr_kernarg_preload_length 0
		.amdhsa_user_sgpr_kernarg_preload_offset 0
		.amdhsa_user_sgpr_private_segment_size 0
		.amdhsa_uses_dynamic_stack 0
		.amdhsa_system_sgpr_private_segment_wavefront_offset 0
		.amdhsa_system_sgpr_workgroup_id_x 1
		.amdhsa_system_sgpr_workgroup_id_y 0
		.amdhsa_system_sgpr_workgroup_id_z 0
		.amdhsa_system_sgpr_workgroup_info 0
		.amdhsa_system_vgpr_workitem_id 0
		.amdhsa_next_free_vgpr 20
		.amdhsa_next_free_sgpr 8
		.amdhsa_accum_offset 20
		.amdhsa_reserve_vcc 1
		.amdhsa_reserve_flat_scratch 0
		.amdhsa_float_round_mode_32 0
		.amdhsa_float_round_mode_16_64 0
		.amdhsa_float_denorm_mode_32 3
		.amdhsa_float_denorm_mode_16_64 3
		.amdhsa_dx10_clamp 1
		.amdhsa_ieee_mode 1
		.amdhsa_fp16_overflow 0
		.amdhsa_tg_split 0
		.amdhsa_exception_fp_ieee_invalid_op 0
		.amdhsa_exception_fp_denorm_src 0
		.amdhsa_exception_fp_ieee_div_zero 0
		.amdhsa_exception_fp_ieee_overflow 0
		.amdhsa_exception_fp_ieee_underflow 0
		.amdhsa_exception_fp_ieee_inexact 0
		.amdhsa_exception_int_div_zero 0
	.end_amdhsa_kernel
	.section	.text._Z30block_run_length_decode_kernelIiiLj256ELj4ELj4EEvPKT_PKT0_PS0_,"axG",@progbits,_Z30block_run_length_decode_kernelIiiLj256ELj4ELj4EEvPKT_PKT0_PS0_,comdat
.Lfunc_end23:
	.size	_Z30block_run_length_decode_kernelIiiLj256ELj4ELj4EEvPKT_PKT0_PS0_, .Lfunc_end23-_Z30block_run_length_decode_kernelIiiLj256ELj4ELj4EEvPKT_PKT0_PS0_
                                        ; -- End function
	.section	.AMDGPU.csdata,"",@progbits
; Kernel info:
; codeLenInByte = 1848
; NumSgprs: 12
; NumVgprs: 20
; NumAgprs: 0
; TotalNumVgprs: 20
; ScratchSize: 0
; MemoryBound: 0
; FloatMode: 240
; IeeeMode: 1
; LDSByteSize: 8192 bytes/workgroup (compile time only)
; SGPRBlocks: 1
; VGPRBlocks: 2
; NumSGPRsForWavesPerEU: 12
; NumVGPRsForWavesPerEU: 20
; AccumOffset: 20
; Occupancy: 8
; WaveLimiterHint : 0
; COMPUTE_PGM_RSRC2:SCRATCH_EN: 0
; COMPUTE_PGM_RSRC2:USER_SGPR: 6
; COMPUTE_PGM_RSRC2:TRAP_HANDLER: 0
; COMPUTE_PGM_RSRC2:TGID_X_EN: 1
; COMPUTE_PGM_RSRC2:TGID_Y_EN: 0
; COMPUTE_PGM_RSRC2:TGID_Z_EN: 0
; COMPUTE_PGM_RSRC2:TIDIG_COMP_CNT: 0
; COMPUTE_PGM_RSRC3_GFX90A:ACCUM_OFFSET: 4
; COMPUTE_PGM_RSRC3_GFX90A:TG_SPLIT: 0
	.text
	.p2alignl 6, 3212836864
	.fill 256, 4, 3212836864
	.type	__hip_cuid_151cf8014b03f984,@object ; @__hip_cuid_151cf8014b03f984
	.section	.bss,"aw",@nobits
	.globl	__hip_cuid_151cf8014b03f984
__hip_cuid_151cf8014b03f984:
	.byte	0                               ; 0x0
	.size	__hip_cuid_151cf8014b03f984, 1

	.ident	"AMD clang version 19.0.0git (https://github.com/RadeonOpenCompute/llvm-project roc-6.4.0 25133 c7fe45cf4b819c5991fe208aaa96edf142730f1d)"
	.section	".note.GNU-stack","",@progbits
	.addrsig
	.addrsig_sym __hip_cuid_151cf8014b03f984
	.amdgpu_metadata
---
amdhsa.kernels:
  - .agpr_count:     0
    .args:
      - .address_space:  global
        .offset:         0
        .size:           8
        .value_kind:     global_buffer
      - .address_space:  global
        .offset:         8
        .size:           8
        .value_kind:     global_buffer
      - .address_space:  global
        .offset:         16
        .size:           8
        .value_kind:     global_buffer
    .group_segment_fixed_size: 13824
    .kernarg_segment_align: 8
    .kernarg_segment_size: 24
    .language:       OpenCL C
    .language_version:
      - 2
      - 0
    .max_flat_workgroup_size: 256
    .name:           _Z30block_run_length_decode_kernelI12hip_bfloat16iLj256ELj9ELj7EEvPKT_PKT0_PS1_
    .private_segment_fixed_size: 0
    .sgpr_count:     13
    .sgpr_spill_count: 0
    .symbol:         _Z30block_run_length_decode_kernelI12hip_bfloat16iLj256ELj9ELj7EEvPKT_PKT0_PS1_.kd
    .uniform_work_group_size: 1
    .uses_dynamic_stack: false
    .vgpr_count:     26
    .vgpr_spill_count: 0
    .wavefront_size: 64
  - .agpr_count:     0
    .args:
      - .address_space:  global
        .offset:         0
        .size:           8
        .value_kind:     global_buffer
      - .address_space:  global
        .offset:         8
        .size:           8
        .value_kind:     global_buffer
      - .address_space:  global
        .offset:         16
        .size:           8
        .value_kind:     global_buffer
    .group_segment_fixed_size: 13824
    .kernarg_segment_align: 8
    .kernarg_segment_size: 24
    .language:       OpenCL C
    .language_version:
      - 2
      - 0
    .max_flat_workgroup_size: 256
    .name:           _Z30block_run_length_decode_kernelI6__halfiLj256ELj9ELj7EEvPKT_PKT0_PS1_
    .private_segment_fixed_size: 0
    .sgpr_count:     13
    .sgpr_spill_count: 0
    .symbol:         _Z30block_run_length_decode_kernelI6__halfiLj256ELj9ELj7EEvPKT_PKT0_PS1_.kd
    .uniform_work_group_size: 1
    .uses_dynamic_stack: false
    .vgpr_count:     26
    .vgpr_spill_count: 0
    .wavefront_size: 64
  - .agpr_count:     0
    .args:
      - .address_space:  global
        .offset:         0
        .size:           8
        .value_kind:     global_buffer
      - .address_space:  global
        .offset:         8
        .size:           8
        .value_kind:     global_buffer
      - .address_space:  global
        .offset:         16
        .size:           8
        .value_kind:     global_buffer
    .group_segment_fixed_size: 18432
    .kernarg_segment_align: 8
    .kernarg_segment_size: 24
    .language:       OpenCL C
    .language_version:
      - 2
      - 0
    .max_flat_workgroup_size: 256
    .name:           _Z30block_run_length_decode_kernelIfiLj256ELj9ELj7EEvPKT_PKT0_PS0_
    .private_segment_fixed_size: 0
    .sgpr_count:     13
    .sgpr_spill_count: 0
    .symbol:         _Z30block_run_length_decode_kernelIfiLj256ELj9ELj7EEvPKT_PKT0_PS0_.kd
    .uniform_work_group_size: 1
    .uses_dynamic_stack: false
    .vgpr_count:     26
    .vgpr_spill_count: 0
    .wavefront_size: 64
  - .agpr_count:     0
    .args:
      - .address_space:  global
        .offset:         0
        .size:           8
        .value_kind:     global_buffer
      - .address_space:  global
        .offset:         8
        .size:           8
        .value_kind:     global_buffer
      - .address_space:  global
        .offset:         16
        .size:           8
        .value_kind:     global_buffer
    .group_segment_fixed_size: 11520
    .kernarg_segment_align: 8
    .kernarg_segment_size: 24
    .language:       OpenCL C
    .language_version:
      - 2
      - 0
    .max_flat_workgroup_size: 256
    .name:           _Z30block_run_length_decode_kernelIcxLj256ELj9ELj7EEvPKT_PKT0_PS0_
    .private_segment_fixed_size: 0
    .sgpr_count:     12
    .sgpr_spill_count: 0
    .symbol:         _Z30block_run_length_decode_kernelIcxLj256ELj9ELj7EEvPKT_PKT0_PS0_.kd
    .uniform_work_group_size: 1
    .uses_dynamic_stack: false
    .vgpr_count:     26
    .vgpr_spill_count: 0
    .wavefront_size: 64
  - .agpr_count:     0
    .args:
      - .address_space:  global
        .offset:         0
        .size:           8
        .value_kind:     global_buffer
      - .address_space:  global
        .offset:         8
        .size:           8
        .value_kind:     global_buffer
      - .address_space:  global
        .offset:         16
        .size:           8
        .value_kind:     global_buffer
    .group_segment_fixed_size: 27648
    .kernarg_segment_align: 8
    .kernarg_segment_size: 24
    .language:       OpenCL C
    .language_version:
      - 2
      - 0
    .max_flat_workgroup_size: 256
    .name:           _Z30block_run_length_decode_kernelIdcLj256ELj9ELj7EEvPKT_PKT0_PS0_
    .private_segment_fixed_size: 0
    .sgpr_count:     13
    .sgpr_spill_count: 0
    .symbol:         _Z30block_run_length_decode_kernelIdcLj256ELj9ELj7EEvPKT_PKT0_PS0_.kd
    .uniform_work_group_size: 1
    .uses_dynamic_stack: false
    .vgpr_count:     35
    .vgpr_spill_count: 0
    .wavefront_size: 64
  - .agpr_count:     0
    .args:
      - .address_space:  global
        .offset:         0
        .size:           8
        .value_kind:     global_buffer
      - .address_space:  global
        .offset:         8
        .size:           8
        .value_kind:     global_buffer
      - .address_space:  global
        .offset:         16
        .size:           8
        .value_kind:     global_buffer
    .group_segment_fixed_size: 18432
    .kernarg_segment_align: 8
    .kernarg_segment_size: 24
    .language:       OpenCL C
    .language_version:
      - 2
      - 0
    .max_flat_workgroup_size: 256
    .name:           _Z30block_run_length_decode_kernelIiiLj256ELj9ELj7EEvPKT_PKT0_PS0_
    .private_segment_fixed_size: 0
    .sgpr_count:     13
    .sgpr_spill_count: 0
    .symbol:         _Z30block_run_length_decode_kernelIiiLj256ELj9ELj7EEvPKT_PKT0_PS0_.kd
    .uniform_work_group_size: 1
    .uses_dynamic_stack: false
    .vgpr_count:     26
    .vgpr_spill_count: 0
    .wavefront_size: 64
  - .agpr_count:     0
    .args:
      - .address_space:  global
        .offset:         0
        .size:           8
        .value_kind:     global_buffer
      - .address_space:  global
        .offset:         8
        .size:           8
        .value_kind:     global_buffer
      - .address_space:  global
        .offset:         16
        .size:           8
        .value_kind:     global_buffer
    .group_segment_fixed_size: 1536
    .kernarg_segment_align: 8
    .kernarg_segment_size: 24
    .language:       OpenCL C
    .language_version:
      - 2
      - 0
    .max_flat_workgroup_size: 256
    .name:           _Z30block_run_length_decode_kernelI12hip_bfloat16iLj256ELj1ELj14EEvPKT_PKT0_PS1_
    .private_segment_fixed_size: 0
    .sgpr_count:     13
    .sgpr_spill_count: 0
    .symbol:         _Z30block_run_length_decode_kernelI12hip_bfloat16iLj256ELj1ELj14EEvPKT_PKT0_PS1_.kd
    .uniform_work_group_size: 1
    .uses_dynamic_stack: false
    .vgpr_count:     39
    .vgpr_spill_count: 0
    .wavefront_size: 64
  - .agpr_count:     0
    .args:
      - .address_space:  global
        .offset:         0
        .size:           8
        .value_kind:     global_buffer
      - .address_space:  global
        .offset:         8
        .size:           8
        .value_kind:     global_buffer
      - .address_space:  global
        .offset:         16
        .size:           8
        .value_kind:     global_buffer
    .group_segment_fixed_size: 1536
    .kernarg_segment_align: 8
    .kernarg_segment_size: 24
    .language:       OpenCL C
    .language_version:
      - 2
      - 0
    .max_flat_workgroup_size: 256
    .name:           _Z30block_run_length_decode_kernelI6__halfiLj256ELj1ELj14EEvPKT_PKT0_PS1_
    .private_segment_fixed_size: 0
    .sgpr_count:     13
    .sgpr_spill_count: 0
    .symbol:         _Z30block_run_length_decode_kernelI6__halfiLj256ELj1ELj14EEvPKT_PKT0_PS1_.kd
    .uniform_work_group_size: 1
    .uses_dynamic_stack: false
    .vgpr_count:     39
    .vgpr_spill_count: 0
    .wavefront_size: 64
  - .agpr_count:     0
    .args:
      - .address_space:  global
        .offset:         0
        .size:           8
        .value_kind:     global_buffer
      - .address_space:  global
        .offset:         8
        .size:           8
        .value_kind:     global_buffer
      - .address_space:  global
        .offset:         16
        .size:           8
        .value_kind:     global_buffer
    .group_segment_fixed_size: 2048
    .kernarg_segment_align: 8
    .kernarg_segment_size: 24
    .language:       OpenCL C
    .language_version:
      - 2
      - 0
    .max_flat_workgroup_size: 256
    .name:           _Z30block_run_length_decode_kernelIfiLj256ELj1ELj14EEvPKT_PKT0_PS0_
    .private_segment_fixed_size: 0
    .sgpr_count:     13
    .sgpr_spill_count: 0
    .symbol:         _Z30block_run_length_decode_kernelIfiLj256ELj1ELj14EEvPKT_PKT0_PS0_.kd
    .uniform_work_group_size: 1
    .uses_dynamic_stack: false
    .vgpr_count:     39
    .vgpr_spill_count: 0
    .wavefront_size: 64
  - .agpr_count:     0
    .args:
      - .address_space:  global
        .offset:         0
        .size:           8
        .value_kind:     global_buffer
      - .address_space:  global
        .offset:         8
        .size:           8
        .value_kind:     global_buffer
      - .address_space:  global
        .offset:         16
        .size:           8
        .value_kind:     global_buffer
    .group_segment_fixed_size: 1280
    .kernarg_segment_align: 8
    .kernarg_segment_size: 24
    .language:       OpenCL C
    .language_version:
      - 2
      - 0
    .max_flat_workgroup_size: 256
    .name:           _Z30block_run_length_decode_kernelIcxLj256ELj1ELj14EEvPKT_PKT0_PS0_
    .private_segment_fixed_size: 0
    .sgpr_count:     12
    .sgpr_spill_count: 0
    .symbol:         _Z30block_run_length_decode_kernelIcxLj256ELj1ELj14EEvPKT_PKT0_PS0_.kd
    .uniform_work_group_size: 1
    .uses_dynamic_stack: false
    .vgpr_count:     39
    .vgpr_spill_count: 0
    .wavefront_size: 64
  - .agpr_count:     0
    .args:
      - .address_space:  global
        .offset:         0
        .size:           8
        .value_kind:     global_buffer
      - .address_space:  global
        .offset:         8
        .size:           8
        .value_kind:     global_buffer
      - .address_space:  global
        .offset:         16
        .size:           8
        .value_kind:     global_buffer
    .group_segment_fixed_size: 3072
    .kernarg_segment_align: 8
    .kernarg_segment_size: 24
    .language:       OpenCL C
    .language_version:
      - 2
      - 0
    .max_flat_workgroup_size: 256
    .name:           _Z30block_run_length_decode_kernelIdcLj256ELj1ELj14EEvPKT_PKT0_PS0_
    .private_segment_fixed_size: 0
    .sgpr_count:     13
    .sgpr_spill_count: 0
    .symbol:         _Z30block_run_length_decode_kernelIdcLj256ELj1ELj14EEvPKT_PKT0_PS0_.kd
    .uniform_work_group_size: 1
    .uses_dynamic_stack: false
    .vgpr_count:     52
    .vgpr_spill_count: 0
    .wavefront_size: 64
  - .agpr_count:     0
    .args:
      - .address_space:  global
        .offset:         0
        .size:           8
        .value_kind:     global_buffer
      - .address_space:  global
        .offset:         8
        .size:           8
        .value_kind:     global_buffer
      - .address_space:  global
        .offset:         16
        .size:           8
        .value_kind:     global_buffer
    .group_segment_fixed_size: 2048
    .kernarg_segment_align: 8
    .kernarg_segment_size: 24
    .language:       OpenCL C
    .language_version:
      - 2
      - 0
    .max_flat_workgroup_size: 256
    .name:           _Z30block_run_length_decode_kernelIiiLj256ELj1ELj14EEvPKT_PKT0_PS0_
    .private_segment_fixed_size: 0
    .sgpr_count:     13
    .sgpr_spill_count: 0
    .symbol:         _Z30block_run_length_decode_kernelIiiLj256ELj1ELj14EEvPKT_PKT0_PS0_.kd
    .uniform_work_group_size: 1
    .uses_dynamic_stack: false
    .vgpr_count:     39
    .vgpr_spill_count: 0
    .wavefront_size: 64
  - .agpr_count:     0
    .args:
      - .address_space:  global
        .offset:         0
        .size:           8
        .value_kind:     global_buffer
      - .address_space:  global
        .offset:         8
        .size:           8
        .value_kind:     global_buffer
      - .address_space:  global
        .offset:         16
        .size:           8
        .value_kind:     global_buffer
    .group_segment_fixed_size: 12288
    .kernarg_segment_align: 8
    .kernarg_segment_size: 24
    .language:       OpenCL C
    .language_version:
      - 2
      - 0
    .max_flat_workgroup_size: 256
    .name:           _Z30block_run_length_decode_kernelI12hip_bfloat16iLj256ELj8ELj8EEvPKT_PKT0_PS1_
    .private_segment_fixed_size: 0
    .sgpr_count:     12
    .sgpr_spill_count: 0
    .symbol:         _Z30block_run_length_decode_kernelI12hip_bfloat16iLj256ELj8ELj8EEvPKT_PKT0_PS1_.kd
    .uniform_work_group_size: 1
    .uses_dynamic_stack: false
    .vgpr_count:     28
    .vgpr_spill_count: 0
    .wavefront_size: 64
  - .agpr_count:     0
    .args:
      - .address_space:  global
        .offset:         0
        .size:           8
        .value_kind:     global_buffer
      - .address_space:  global
        .offset:         8
        .size:           8
        .value_kind:     global_buffer
      - .address_space:  global
        .offset:         16
        .size:           8
        .value_kind:     global_buffer
    .group_segment_fixed_size: 12288
    .kernarg_segment_align: 8
    .kernarg_segment_size: 24
    .language:       OpenCL C
    .language_version:
      - 2
      - 0
    .max_flat_workgroup_size: 256
    .name:           _Z30block_run_length_decode_kernelI6__halfiLj256ELj8ELj8EEvPKT_PKT0_PS1_
    .private_segment_fixed_size: 0
    .sgpr_count:     12
    .sgpr_spill_count: 0
    .symbol:         _Z30block_run_length_decode_kernelI6__halfiLj256ELj8ELj8EEvPKT_PKT0_PS1_.kd
    .uniform_work_group_size: 1
    .uses_dynamic_stack: false
    .vgpr_count:     28
    .vgpr_spill_count: 0
    .wavefront_size: 64
  - .agpr_count:     0
    .args:
      - .address_space:  global
        .offset:         0
        .size:           8
        .value_kind:     global_buffer
      - .address_space:  global
        .offset:         8
        .size:           8
        .value_kind:     global_buffer
      - .address_space:  global
        .offset:         16
        .size:           8
        .value_kind:     global_buffer
    .group_segment_fixed_size: 16384
    .kernarg_segment_align: 8
    .kernarg_segment_size: 24
    .language:       OpenCL C
    .language_version:
      - 2
      - 0
    .max_flat_workgroup_size: 256
    .name:           _Z30block_run_length_decode_kernelIfiLj256ELj8ELj8EEvPKT_PKT0_PS0_
    .private_segment_fixed_size: 0
    .sgpr_count:     12
    .sgpr_spill_count: 0
    .symbol:         _Z30block_run_length_decode_kernelIfiLj256ELj8ELj8EEvPKT_PKT0_PS0_.kd
    .uniform_work_group_size: 1
    .uses_dynamic_stack: false
    .vgpr_count:     28
    .vgpr_spill_count: 0
    .wavefront_size: 64
  - .agpr_count:     0
    .args:
      - .address_space:  global
        .offset:         0
        .size:           8
        .value_kind:     global_buffer
      - .address_space:  global
        .offset:         8
        .size:           8
        .value_kind:     global_buffer
      - .address_space:  global
        .offset:         16
        .size:           8
        .value_kind:     global_buffer
    .group_segment_fixed_size: 10240
    .kernarg_segment_align: 8
    .kernarg_segment_size: 24
    .language:       OpenCL C
    .language_version:
      - 2
      - 0
    .max_flat_workgroup_size: 256
    .name:           _Z30block_run_length_decode_kernelIcxLj256ELj8ELj8EEvPKT_PKT0_PS0_
    .private_segment_fixed_size: 0
    .sgpr_count:     13
    .sgpr_spill_count: 0
    .symbol:         _Z30block_run_length_decode_kernelIcxLj256ELj8ELj8EEvPKT_PKT0_PS0_.kd
    .uniform_work_group_size: 1
    .uses_dynamic_stack: false
    .vgpr_count:     28
    .vgpr_spill_count: 0
    .wavefront_size: 64
  - .agpr_count:     0
    .args:
      - .address_space:  global
        .offset:         0
        .size:           8
        .value_kind:     global_buffer
      - .address_space:  global
        .offset:         8
        .size:           8
        .value_kind:     global_buffer
      - .address_space:  global
        .offset:         16
        .size:           8
        .value_kind:     global_buffer
    .group_segment_fixed_size: 24576
    .kernarg_segment_align: 8
    .kernarg_segment_size: 24
    .language:       OpenCL C
    .language_version:
      - 2
      - 0
    .max_flat_workgroup_size: 256
    .name:           _Z30block_run_length_decode_kernelIdcLj256ELj8ELj8EEvPKT_PKT0_PS0_
    .private_segment_fixed_size: 0
    .sgpr_count:     12
    .sgpr_spill_count: 0
    .symbol:         _Z30block_run_length_decode_kernelIdcLj256ELj8ELj8EEvPKT_PKT0_PS0_.kd
    .uniform_work_group_size: 1
    .uses_dynamic_stack: false
    .vgpr_count:     35
    .vgpr_spill_count: 0
    .wavefront_size: 64
  - .agpr_count:     0
    .args:
      - .address_space:  global
        .offset:         0
        .size:           8
        .value_kind:     global_buffer
      - .address_space:  global
        .offset:         8
        .size:           8
        .value_kind:     global_buffer
      - .address_space:  global
        .offset:         16
        .size:           8
        .value_kind:     global_buffer
    .group_segment_fixed_size: 16384
    .kernarg_segment_align: 8
    .kernarg_segment_size: 24
    .language:       OpenCL C
    .language_version:
      - 2
      - 0
    .max_flat_workgroup_size: 256
    .name:           _Z30block_run_length_decode_kernelIiiLj256ELj8ELj8EEvPKT_PKT0_PS0_
    .private_segment_fixed_size: 0
    .sgpr_count:     12
    .sgpr_spill_count: 0
    .symbol:         _Z30block_run_length_decode_kernelIiiLj256ELj8ELj8EEvPKT_PKT0_PS0_.kd
    .uniform_work_group_size: 1
    .uses_dynamic_stack: false
    .vgpr_count:     28
    .vgpr_spill_count: 0
    .wavefront_size: 64
  - .agpr_count:     0
    .args:
      - .address_space:  global
        .offset:         0
        .size:           8
        .value_kind:     global_buffer
      - .address_space:  global
        .offset:         8
        .size:           8
        .value_kind:     global_buffer
      - .address_space:  global
        .offset:         16
        .size:           8
        .value_kind:     global_buffer
    .group_segment_fixed_size: 6144
    .kernarg_segment_align: 8
    .kernarg_segment_size: 24
    .language:       OpenCL C
    .language_version:
      - 2
      - 0
    .max_flat_workgroup_size: 256
    .name:           _Z30block_run_length_decode_kernelI12hip_bfloat16iLj256ELj4ELj4EEvPKT_PKT0_PS1_
    .private_segment_fixed_size: 0
    .sgpr_count:     12
    .sgpr_spill_count: 0
    .symbol:         _Z30block_run_length_decode_kernelI12hip_bfloat16iLj256ELj4ELj4EEvPKT_PKT0_PS1_.kd
    .uniform_work_group_size: 1
    .uses_dynamic_stack: false
    .vgpr_count:     20
    .vgpr_spill_count: 0
    .wavefront_size: 64
  - .agpr_count:     0
    .args:
      - .address_space:  global
        .offset:         0
        .size:           8
        .value_kind:     global_buffer
      - .address_space:  global
        .offset:         8
        .size:           8
        .value_kind:     global_buffer
      - .address_space:  global
        .offset:         16
        .size:           8
        .value_kind:     global_buffer
    .group_segment_fixed_size: 6144
    .kernarg_segment_align: 8
    .kernarg_segment_size: 24
    .language:       OpenCL C
    .language_version:
      - 2
      - 0
    .max_flat_workgroup_size: 256
    .name:           _Z30block_run_length_decode_kernelI6__halfiLj256ELj4ELj4EEvPKT_PKT0_PS1_
    .private_segment_fixed_size: 0
    .sgpr_count:     12
    .sgpr_spill_count: 0
    .symbol:         _Z30block_run_length_decode_kernelI6__halfiLj256ELj4ELj4EEvPKT_PKT0_PS1_.kd
    .uniform_work_group_size: 1
    .uses_dynamic_stack: false
    .vgpr_count:     20
    .vgpr_spill_count: 0
    .wavefront_size: 64
  - .agpr_count:     0
    .args:
      - .address_space:  global
        .offset:         0
        .size:           8
        .value_kind:     global_buffer
      - .address_space:  global
        .offset:         8
        .size:           8
        .value_kind:     global_buffer
      - .address_space:  global
        .offset:         16
        .size:           8
        .value_kind:     global_buffer
    .group_segment_fixed_size: 8192
    .kernarg_segment_align: 8
    .kernarg_segment_size: 24
    .language:       OpenCL C
    .language_version:
      - 2
      - 0
    .max_flat_workgroup_size: 256
    .name:           _Z30block_run_length_decode_kernelIfiLj256ELj4ELj4EEvPKT_PKT0_PS0_
    .private_segment_fixed_size: 0
    .sgpr_count:     12
    .sgpr_spill_count: 0
    .symbol:         _Z30block_run_length_decode_kernelIfiLj256ELj4ELj4EEvPKT_PKT0_PS0_.kd
    .uniform_work_group_size: 1
    .uses_dynamic_stack: false
    .vgpr_count:     20
    .vgpr_spill_count: 0
    .wavefront_size: 64
  - .agpr_count:     0
    .args:
      - .address_space:  global
        .offset:         0
        .size:           8
        .value_kind:     global_buffer
      - .address_space:  global
        .offset:         8
        .size:           8
        .value_kind:     global_buffer
      - .address_space:  global
        .offset:         16
        .size:           8
        .value_kind:     global_buffer
    .group_segment_fixed_size: 5120
    .kernarg_segment_align: 8
    .kernarg_segment_size: 24
    .language:       OpenCL C
    .language_version:
      - 2
      - 0
    .max_flat_workgroup_size: 256
    .name:           _Z30block_run_length_decode_kernelIcxLj256ELj4ELj4EEvPKT_PKT0_PS0_
    .private_segment_fixed_size: 0
    .sgpr_count:     13
    .sgpr_spill_count: 0
    .symbol:         _Z30block_run_length_decode_kernelIcxLj256ELj4ELj4EEvPKT_PKT0_PS0_.kd
    .uniform_work_group_size: 1
    .uses_dynamic_stack: false
    .vgpr_count:     20
    .vgpr_spill_count: 0
    .wavefront_size: 64
  - .agpr_count:     0
    .args:
      - .address_space:  global
        .offset:         0
        .size:           8
        .value_kind:     global_buffer
      - .address_space:  global
        .offset:         8
        .size:           8
        .value_kind:     global_buffer
      - .address_space:  global
        .offset:         16
        .size:           8
        .value_kind:     global_buffer
    .group_segment_fixed_size: 12288
    .kernarg_segment_align: 8
    .kernarg_segment_size: 24
    .language:       OpenCL C
    .language_version:
      - 2
      - 0
    .max_flat_workgroup_size: 256
    .name:           _Z30block_run_length_decode_kernelIdcLj256ELj4ELj4EEvPKT_PKT0_PS0_
    .private_segment_fixed_size: 0
    .sgpr_count:     12
    .sgpr_spill_count: 0
    .symbol:         _Z30block_run_length_decode_kernelIdcLj256ELj4ELj4EEvPKT_PKT0_PS0_.kd
    .uniform_work_group_size: 1
    .uses_dynamic_stack: false
    .vgpr_count:     23
    .vgpr_spill_count: 0
    .wavefront_size: 64
  - .agpr_count:     0
    .args:
      - .address_space:  global
        .offset:         0
        .size:           8
        .value_kind:     global_buffer
      - .address_space:  global
        .offset:         8
        .size:           8
        .value_kind:     global_buffer
      - .address_space:  global
        .offset:         16
        .size:           8
        .value_kind:     global_buffer
    .group_segment_fixed_size: 8192
    .kernarg_segment_align: 8
    .kernarg_segment_size: 24
    .language:       OpenCL C
    .language_version:
      - 2
      - 0
    .max_flat_workgroup_size: 256
    .name:           _Z30block_run_length_decode_kernelIiiLj256ELj4ELj4EEvPKT_PKT0_PS0_
    .private_segment_fixed_size: 0
    .sgpr_count:     12
    .sgpr_spill_count: 0
    .symbol:         _Z30block_run_length_decode_kernelIiiLj256ELj4ELj4EEvPKT_PKT0_PS0_.kd
    .uniform_work_group_size: 1
    .uses_dynamic_stack: false
    .vgpr_count:     20
    .vgpr_spill_count: 0
    .wavefront_size: 64
amdhsa.target:   amdgcn-amd-amdhsa--gfx90a
amdhsa.version:
  - 1
  - 2
...

	.end_amdgpu_metadata
